;; amdgpu-corpus repo=ROCm/rocFFT kind=compiled arch=gfx1030 opt=O3
	.text
	.amdgcn_target "amdgcn-amd-amdhsa--gfx1030"
	.amdhsa_code_object_version 6
	.protected	fft_rtc_back_len578_factors_17_17_2_wgs_238_tpt_34_halfLds_half_ip_CI_unitstride_sbrr_R2C_dirReg ; -- Begin function fft_rtc_back_len578_factors_17_17_2_wgs_238_tpt_34_halfLds_half_ip_CI_unitstride_sbrr_R2C_dirReg
	.globl	fft_rtc_back_len578_factors_17_17_2_wgs_238_tpt_34_halfLds_half_ip_CI_unitstride_sbrr_R2C_dirReg
	.p2align	8
	.type	fft_rtc_back_len578_factors_17_17_2_wgs_238_tpt_34_halfLds_half_ip_CI_unitstride_sbrr_R2C_dirReg,@function
fft_rtc_back_len578_factors_17_17_2_wgs_238_tpt_34_halfLds_half_ip_CI_unitstride_sbrr_R2C_dirReg: ; @fft_rtc_back_len578_factors_17_17_2_wgs_238_tpt_34_halfLds_half_ip_CI_unitstride_sbrr_R2C_dirReg
; %bb.0:
	s_load_dwordx4 s[8:11], s[4:5], 0x0
	v_mul_u32_u24_e32 v1, 0x788, v0
	s_clause 0x1
	s_load_dwordx2 s[2:3], s[4:5], 0x50
	s_load_dwordx2 s[12:13], s[4:5], 0x18
	v_mov_b32_e32 v5, 0
	v_mov_b32_e32 v3, 0
	;; [unrolled: 1-line block ×3, first 2 shown]
	v_lshrrev_b32_e32 v1, 16, v1
	v_mad_u64_u32 v[1:2], null, s6, 7, v[1:2]
	v_mov_b32_e32 v2, v5
	v_mov_b32_e32 v10, v2
	;; [unrolled: 1-line block ×3, first 2 shown]
	s_waitcnt lgkmcnt(0)
	v_cmp_lt_u64_e64 s0, s[10:11], 2
	s_and_b32 vcc_lo, exec_lo, s0
	s_cbranch_vccnz .LBB0_8
; %bb.1:
	s_load_dwordx2 s[0:1], s[4:5], 0x10
	v_mov_b32_e32 v3, 0
	v_mov_b32_e32 v8, v2
	s_add_u32 s6, s12, 8
	v_mov_b32_e32 v4, 0
	v_mov_b32_e32 v7, v1
	s_addc_u32 s7, s13, 0
	s_mov_b64 s[16:17], 1
	s_waitcnt lgkmcnt(0)
	s_add_u32 s14, s0, 8
	s_addc_u32 s15, s1, 0
.LBB0_2:                                ; =>This Inner Loop Header: Depth=1
	s_load_dwordx2 s[18:19], s[14:15], 0x0
                                        ; implicit-def: $vgpr9_vgpr10
	s_mov_b32 s0, exec_lo
	s_waitcnt lgkmcnt(0)
	v_or_b32_e32 v6, s19, v8
	v_cmpx_ne_u64_e32 0, v[5:6]
	s_xor_b32 s1, exec_lo, s0
	s_cbranch_execz .LBB0_4
; %bb.3:                                ;   in Loop: Header=BB0_2 Depth=1
	v_cvt_f32_u32_e32 v2, s18
	v_cvt_f32_u32_e32 v6, s19
	s_sub_u32 s0, 0, s18
	s_subb_u32 s20, 0, s19
	v_fmac_f32_e32 v2, 0x4f800000, v6
	v_rcp_f32_e32 v2, v2
	v_mul_f32_e32 v2, 0x5f7ffffc, v2
	v_mul_f32_e32 v6, 0x2f800000, v2
	v_trunc_f32_e32 v6, v6
	v_fmac_f32_e32 v2, 0xcf800000, v6
	v_cvt_u32_f32_e32 v6, v6
	v_cvt_u32_f32_e32 v2, v2
	v_mul_lo_u32 v9, s0, v6
	v_mul_hi_u32 v10, s0, v2
	v_mul_lo_u32 v11, s20, v2
	v_add_nc_u32_e32 v9, v10, v9
	v_mul_lo_u32 v10, s0, v2
	v_add_nc_u32_e32 v9, v9, v11
	v_mul_hi_u32 v11, v2, v10
	v_mul_lo_u32 v12, v2, v9
	v_mul_hi_u32 v13, v2, v9
	v_mul_hi_u32 v14, v6, v10
	v_mul_lo_u32 v10, v6, v10
	v_mul_hi_u32 v15, v6, v9
	v_mul_lo_u32 v9, v6, v9
	v_add_co_u32 v11, vcc_lo, v11, v12
	v_add_co_ci_u32_e32 v12, vcc_lo, 0, v13, vcc_lo
	v_add_co_u32 v10, vcc_lo, v11, v10
	v_add_co_ci_u32_e32 v10, vcc_lo, v12, v14, vcc_lo
	v_add_co_ci_u32_e32 v11, vcc_lo, 0, v15, vcc_lo
	v_add_co_u32 v9, vcc_lo, v10, v9
	v_add_co_ci_u32_e32 v10, vcc_lo, 0, v11, vcc_lo
	v_add_co_u32 v2, vcc_lo, v2, v9
	v_add_co_ci_u32_e32 v6, vcc_lo, v6, v10, vcc_lo
	v_mul_hi_u32 v9, s0, v2
	v_mul_lo_u32 v11, s20, v2
	v_mul_lo_u32 v10, s0, v6
	v_add_nc_u32_e32 v9, v9, v10
	v_mul_lo_u32 v10, s0, v2
	v_add_nc_u32_e32 v9, v9, v11
	v_mul_hi_u32 v11, v2, v10
	v_mul_lo_u32 v12, v2, v9
	v_mul_hi_u32 v13, v2, v9
	v_mul_hi_u32 v14, v6, v10
	v_mul_lo_u32 v10, v6, v10
	v_mul_hi_u32 v15, v6, v9
	v_mul_lo_u32 v9, v6, v9
	v_add_co_u32 v11, vcc_lo, v11, v12
	v_add_co_ci_u32_e32 v12, vcc_lo, 0, v13, vcc_lo
	v_add_co_u32 v10, vcc_lo, v11, v10
	v_add_co_ci_u32_e32 v10, vcc_lo, v12, v14, vcc_lo
	v_add_co_ci_u32_e32 v11, vcc_lo, 0, v15, vcc_lo
	v_add_co_u32 v9, vcc_lo, v10, v9
	v_add_co_ci_u32_e32 v10, vcc_lo, 0, v11, vcc_lo
	v_add_co_u32 v2, vcc_lo, v2, v9
	v_add_co_ci_u32_e32 v6, vcc_lo, v6, v10, vcc_lo
	v_mul_hi_u32 v15, v7, v2
	v_mad_u64_u32 v[11:12], null, v8, v2, 0
	v_mad_u64_u32 v[9:10], null, v7, v6, 0
	v_mad_u64_u32 v[13:14], null, v8, v6, 0
	v_add_co_u32 v2, vcc_lo, v15, v9
	v_add_co_ci_u32_e32 v6, vcc_lo, 0, v10, vcc_lo
	v_add_co_u32 v2, vcc_lo, v2, v11
	v_add_co_ci_u32_e32 v2, vcc_lo, v6, v12, vcc_lo
	v_add_co_ci_u32_e32 v6, vcc_lo, 0, v14, vcc_lo
	v_add_co_u32 v2, vcc_lo, v2, v13
	v_add_co_ci_u32_e32 v6, vcc_lo, 0, v6, vcc_lo
	v_mul_lo_u32 v11, s19, v2
	v_mad_u64_u32 v[9:10], null, s18, v2, 0
	v_mul_lo_u32 v12, s18, v6
	v_sub_co_u32 v9, vcc_lo, v7, v9
	v_add3_u32 v10, v10, v12, v11
	v_sub_nc_u32_e32 v11, v8, v10
	v_subrev_co_ci_u32_e64 v11, s0, s19, v11, vcc_lo
	v_add_co_u32 v12, s0, v2, 2
	v_add_co_ci_u32_e64 v13, s0, 0, v6, s0
	v_sub_co_u32 v14, s0, v9, s18
	v_sub_co_ci_u32_e32 v10, vcc_lo, v8, v10, vcc_lo
	v_subrev_co_ci_u32_e64 v11, s0, 0, v11, s0
	v_cmp_le_u32_e32 vcc_lo, s18, v14
	v_cmp_eq_u32_e64 s0, s19, v10
	v_cndmask_b32_e64 v14, 0, -1, vcc_lo
	v_cmp_le_u32_e32 vcc_lo, s19, v11
	v_cndmask_b32_e64 v15, 0, -1, vcc_lo
	v_cmp_le_u32_e32 vcc_lo, s18, v9
	;; [unrolled: 2-line block ×3, first 2 shown]
	v_cndmask_b32_e64 v16, 0, -1, vcc_lo
	v_cmp_eq_u32_e32 vcc_lo, s19, v11
	v_cndmask_b32_e64 v9, v16, v9, s0
	v_cndmask_b32_e32 v11, v15, v14, vcc_lo
	v_add_co_u32 v14, vcc_lo, v2, 1
	v_add_co_ci_u32_e32 v15, vcc_lo, 0, v6, vcc_lo
	v_cmp_ne_u32_e32 vcc_lo, 0, v11
	v_cndmask_b32_e32 v10, v15, v13, vcc_lo
	v_cndmask_b32_e32 v11, v14, v12, vcc_lo
	v_cmp_ne_u32_e32 vcc_lo, 0, v9
	v_cndmask_b32_e32 v10, v6, v10, vcc_lo
	v_cndmask_b32_e32 v9, v2, v11, vcc_lo
.LBB0_4:                                ;   in Loop: Header=BB0_2 Depth=1
	s_andn2_saveexec_b32 s0, s1
	s_cbranch_execz .LBB0_6
; %bb.5:                                ;   in Loop: Header=BB0_2 Depth=1
	v_cvt_f32_u32_e32 v2, s18
	s_sub_i32 s1, 0, s18
	v_rcp_iflag_f32_e32 v2, v2
	v_mul_f32_e32 v2, 0x4f7ffffe, v2
	v_cvt_u32_f32_e32 v2, v2
	v_mul_lo_u32 v6, s1, v2
	v_mul_hi_u32 v6, v2, v6
	v_add_nc_u32_e32 v2, v2, v6
	v_mul_hi_u32 v2, v7, v2
	v_mul_lo_u32 v6, v2, s18
	v_add_nc_u32_e32 v9, 1, v2
	v_sub_nc_u32_e32 v6, v7, v6
	v_subrev_nc_u32_e32 v10, s18, v6
	v_cmp_le_u32_e32 vcc_lo, s18, v6
	v_cndmask_b32_e32 v6, v6, v10, vcc_lo
	v_cndmask_b32_e32 v2, v2, v9, vcc_lo
	v_mov_b32_e32 v10, v5
	v_cmp_le_u32_e32 vcc_lo, s18, v6
	v_add_nc_u32_e32 v9, 1, v2
	v_cndmask_b32_e32 v9, v2, v9, vcc_lo
.LBB0_6:                                ;   in Loop: Header=BB0_2 Depth=1
	s_or_b32 exec_lo, exec_lo, s0
	s_load_dwordx2 s[0:1], s[6:7], 0x0
	v_mul_lo_u32 v2, v10, s18
	v_mul_lo_u32 v6, v9, s19
	v_mad_u64_u32 v[11:12], null, v9, s18, 0
	s_add_u32 s16, s16, 1
	s_addc_u32 s17, s17, 0
	s_add_u32 s6, s6, 8
	s_addc_u32 s7, s7, 0
	;; [unrolled: 2-line block ×3, first 2 shown]
	v_add3_u32 v2, v12, v6, v2
	v_sub_co_u32 v6, vcc_lo, v7, v11
	v_sub_co_ci_u32_e32 v2, vcc_lo, v8, v2, vcc_lo
	s_waitcnt lgkmcnt(0)
	v_mul_lo_u32 v7, s1, v6
	v_mul_lo_u32 v2, s0, v2
	v_mad_u64_u32 v[3:4], null, s0, v6, v[3:4]
	v_cmp_ge_u64_e64 s0, s[16:17], s[10:11]
	s_and_b32 vcc_lo, exec_lo, s0
	v_add3_u32 v4, v7, v4, v2
	s_cbranch_vccnz .LBB0_8
; %bb.7:                                ;   in Loop: Header=BB0_2 Depth=1
	v_mov_b32_e32 v7, v9
	v_mov_b32_e32 v8, v10
	s_branch .LBB0_2
.LBB0_8:
	v_mul_hi_u32 v2, 0x24924925, v1
	s_lshl_b64 s[0:1], s[10:11], 3
	v_mul_hi_u32 v5, 0x7878788, v0
	s_add_u32 s0, s12, s0
	s_addc_u32 s1, s13, s1
	s_load_dwordx2 s[4:5], s[4:5], 0x20
	s_load_dwordx2 s[0:1], s[0:1], 0x0
	v_sub_nc_u32_e32 v6, v1, v2
	v_mul_u32_u24_e32 v5, 34, v5
	v_lshrrev_b32_e32 v6, 1, v6
	v_sub_nc_u32_e32 v16, v0, v5
	v_add_nc_u32_e32 v0, v6, v2
	v_add_nc_u32_e32 v27, 34, v16
	;; [unrolled: 1-line block ×4, first 2 shown]
	v_lshrrev_b32_e32 v0, 2, v0
	v_add_nc_u32_e32 v24, 0x88, v16
	s_waitcnt lgkmcnt(0)
	v_cmp_gt_u64_e32 vcc_lo, s[4:5], v[9:10]
	v_mul_lo_u32 v5, s0, v10
	v_mul_lo_u32 v6, s1, v9
	v_mad_u64_u32 v[2:3], null, s0, v9, v[3:4]
	v_mul_lo_u32 v0, v0, 7
	v_cmp_le_u64_e64 s0, s[4:5], v[9:10]
	v_add_nc_u32_e32 v23, 0xaa, v16
	v_add_nc_u32_e32 v22, 0xcc, v16
	;; [unrolled: 1-line block ×4, first 2 shown]
	v_add3_u32 v3, v6, v3, v5
	v_sub_nc_u32_e32 v0, v1, v0
	s_and_saveexec_b32 s1, s0
	s_xor_b32 s0, exec_lo, s1
; %bb.9:
	v_add_nc_u32_e32 v27, 34, v16
	v_add_nc_u32_e32 v29, 0x44, v16
	;; [unrolled: 1-line block ×8, first 2 shown]
; %bb.10:
	s_or_saveexec_b32 s1, s0
	v_mul_u32_u24_e32 v0, 0x243, v0
	v_lshlrev_b64 v[18:19], 2, v[2:3]
	v_lshlrev_b32_e32 v43, 2, v16
	v_lshlrev_b32_e32 v28, 2, v0
	s_xor_b32 exec_lo, exec_lo, s1
	s_cbranch_execz .LBB0_12
; %bb.11:
	v_mov_b32_e32 v17, 0
	v_add_co_u32 v2, s0, s2, v18
	v_add_co_ci_u32_e64 v3, s0, s3, v19, s0
	v_lshlrev_b64 v[0:1], 2, v[16:17]
	v_add_co_u32 v0, s0, v2, v0
	v_add_co_ci_u32_e64 v1, s0, v3, v1, s0
	s_clause 0x7
	global_load_dword v4, v[0:1], off
	global_load_dword v5, v[0:1], off offset:136
	global_load_dword v6, v[0:1], off offset:272
	;; [unrolled: 1-line block ×7, first 2 shown]
	v_add_co_u32 v2, s0, 0x800, v0
	v_add_co_ci_u32_e64 v3, s0, 0, v1, s0
	s_clause 0x8
	global_load_dword v12, v[0:1], off offset:1088
	global_load_dword v13, v[0:1], off offset:1224
	global_load_dword v14, v[0:1], off offset:1360
	global_load_dword v15, v[0:1], off offset:1496
	global_load_dword v17, v[0:1], off offset:1632
	global_load_dword v26, v[0:1], off offset:1768
	global_load_dword v30, v[0:1], off offset:1904
	global_load_dword v0, v[0:1], off offset:2040
	global_load_dword v1, v[2:3], off offset:128
	v_add3_u32 v2, 0, v28, v43
	v_add_nc_u32_e32 v3, 0x400, v2
	s_waitcnt vmcnt(15)
	ds_write2_b32 v2, v4, v5 offset1:34
	s_waitcnt vmcnt(13)
	ds_write2_b32 v2, v6, v7 offset0:68 offset1:102
	s_waitcnt vmcnt(11)
	ds_write2_b32 v2, v8, v9 offset0:136 offset1:170
	;; [unrolled: 2-line block ×7, first 2 shown]
	s_waitcnt vmcnt(0)
	ds_write_b32 v2, v1 offset:2176
.LBB0_12:
	s_or_b32 exec_lo, exec_lo, s1
	v_add_nc_u32_e32 v44, 0, v28
	v_add3_u32 v45, 0, v43, v28
	s_waitcnt lgkmcnt(0)
	s_barrier
	buffer_gl0_inv
	v_add_nc_u32_e32 v42, v44, v43
	v_add_nc_u32_e32 v17, 0x600, v45
	ds_read2_b32 v[6:7], v45 offset0:34 offset1:68
	v_add_nc_u32_e32 v26, 0x400, v45
	v_add_nc_u32_e32 v9, 0x200, v45
	ds_read_b32 v8, v42
	ds_read2_b32 v[0:1], v17 offset0:126 offset1:160
	ds_read2_b32 v[4:5], v45 offset0:102 offset1:136
	;; [unrolled: 1-line block ×4, first 2 shown]
	v_mov_b32_e32 v58, 0xb964
	ds_read2_b32 v[59:60], v26 offset0:118 offset1:152
	ds_read2_b32 v[30:31], v9 offset0:110 offset1:144
	;; [unrolled: 1-line block ×3, first 2 shown]
	v_mov_b32_e32 v56, 0x39e9
	v_mov_b32_e32 v65, 0xbb29
	v_mov_b32_e32 v55, 0x3722
	v_mov_b32_e32 v76, 0xbbf7
	v_mov_b32_e32 v94, 0x3bb2
	v_mov_b32_e32 v96, 0x3836
	v_mov_b32_e32 v97, 0xbacd
	v_mov_b32_e32 v109, 0x35c8
	v_mov_b32_e32 v110, 0xb836
	v_mad_u32_u24 v9, 0x44, v16, v44
	s_waitcnt lgkmcnt(0)
	s_barrier
	v_pk_add_f16 v10, v8, v6
	v_pk_add_f16 v54, v1, v6
	v_pk_add_f16 v52, v6, v1 neg_lo:[0,1] neg_hi:[0,1]
	v_pk_add_f16 v51, v3, v4
	v_pk_add_f16 v48, v4, v3 neg_lo:[0,1] neg_hi:[0,1]
	;; [unrolled: 2-line block ×4, first 2 shown]
	v_pk_add_f16 v53, v0, v7
	v_pk_add_f16 v4, v6, v4
	v_pk_mul_f16 v6, 0xb964, v50 op_sel_hi:[0,1]
	v_pk_mul_f16 v7, 0xbb29, v48 op_sel_hi:[0,1]
	v_pk_add_f16 v40, v14, v60 neg_lo:[0,1] neg_hi:[0,1]
	v_pk_mul_f16 v10, 0xbbf7, v46 op_sel_hi:[0,1]
	v_pk_add_f16 v4, v4, v5
	v_pk_mul_f16 v5, 0xb5c8, v52 op_sel_hi:[0,1]
	v_pk_fma_f16 v34, 0x39e9, v53, v6 op_sel:[0,0,1] op_sel_hi:[0,1,0]
	v_pk_fma_f16 v35, 0x39e9, v53, v6 op_sel:[0,0,1] op_sel_hi:[0,1,0] neg_lo:[0,0,1] neg_hi:[0,0,1]
	v_pk_fma_f16 v32, 0x3722, v51, v7 op_sel:[0,0,1] op_sel_hi:[0,1,0]
	v_pk_add_f16 v4, v4, v14
	v_pk_fma_f16 v36, 0x3b76, v54, v5 op_sel:[0,0,1] op_sel_hi:[0,1,0]
	v_pk_fma_f16 v37, 0x3b76, v54, v5 op_sel:[0,0,1] op_sel_hi:[0,1,0] neg_lo:[0,0,1] neg_hi:[0,0,1]
	v_pk_fma_f16 v33, 0x3722, v51, v7 op_sel:[0,0,1] op_sel_hi:[0,1,0] neg_lo:[0,0,1] neg_hi:[0,0,1]
	v_bfi_b32 v6, 0xffff, v34, v35
	v_pk_add_f16 v4, v4, v15
	v_pk_add_f16 v47, v60, v14
	v_bfi_b32 v5, 0xffff, v36, v37
	v_pk_add_f16 v38, v15, v59 neg_lo:[0,1] neg_hi:[0,1]
	v_pk_add_f16 v39, v62, v30
	v_pk_add_f16 v4, v4, v30
	v_pk_add_f16 v12, v30, v62 neg_lo:[0,1] neg_hi:[0,1]
	v_pk_add_f16 v5, v8, v5
	v_pk_add_f16 v13, v61, v31
	v_pk_add_f16 v11, v31, v61 neg_lo:[0,1] neg_hi:[0,1]
	v_pk_add_f16 v4, v4, v31
	v_pk_mul_f16 v57, 0xbbb2, v40 op_sel_hi:[0,1]
	v_pk_fma_f16 v30, 0x2de8, v49, v10 op_sel:[0,0,1] op_sel_hi:[0,1,0]
	v_pk_fma_f16 v31, 0x2de8, v49, v10 op_sel:[0,0,1] op_sel_hi:[0,1,0] neg_lo:[0,0,1] neg_hi:[0,0,1]
	v_bfi_b32 v7, 0xffff, v32, v33
	v_pk_add_f16 v4, v4, v61
	v_pk_add_f16 v5, v6, v5
	;; [unrolled: 1-line block ×3, first 2 shown]
	v_pk_mul_f16 v63, 0xba62, v38 op_sel_hi:[0,1]
	v_pk_fma_f16 v14, 0xb461, v47, v57 op_sel:[0,0,1] op_sel_hi:[0,1,0]
	v_pk_add_f16 v4, v4, v62
	v_pk_fma_f16 v15, 0xb461, v47, v57 op_sel:[0,0,1] op_sel_hi:[0,1,0] neg_lo:[0,0,1] neg_hi:[0,0,1]
	v_bfi_b32 v10, 0xffff, v30, v31
	v_pk_add_f16 v5, v7, v5
	v_pk_fma_f16 v6, 0xb8d2, v41, v63 op_sel:[0,0,1] op_sel_hi:[0,1,0]
	v_pk_add_f16 v4, v4, v59
	v_pk_fma_f16 v7, 0xb8d2, v41, v63 op_sel:[0,0,1] op_sel_hi:[0,1,0] neg_lo:[0,0,1] neg_hi:[0,0,1]
	v_bfi_b32 v57, 0xffff, v14, v15
	v_pk_add_f16 v10, v10, v5
	v_mul_f16_sdwa v77, v52, v58 dst_sel:DWORD dst_unused:UNUSED_PAD src0_sel:WORD_1 src1_sel:DWORD
	v_pk_add_f16 v59, v4, v60
	v_bfi_b32 v60, 0xffff, v6, v7
	v_pk_mul_f16 v64, 0xb836, v12 op_sel_hi:[0,1]
	v_pk_add_f16 v57, v57, v10
	v_pk_mul_f16 v66, 0xb1e1, v11 op_sel_hi:[0,1]
	v_pk_add_f16 v59, v59, v2
	v_mul_f16_sdwa v79, v54, v56 dst_sel:DWORD dst_unused:UNUSED_PAD src0_sel:WORD_1 src1_sel:DWORD
	v_pk_fma_f16 v4, 0xbacd, v39, v64 op_sel:[0,0,1] op_sel_hi:[0,1,0]
	v_pk_add_f16 v60, v60, v57
	v_fmamk_f16 v57, v54, 0x39e9, v77
	v_pk_fma_f16 v5, 0xbacd, v39, v64 op_sel:[0,0,1] op_sel_hi:[0,1,0] neg_lo:[0,0,1] neg_hi:[0,0,1]
	v_pk_add_f16 v80, v59, v3
	v_mov_b32_e32 v64, 0x2de8
	v_mul_f16_sdwa v82, v52, v65 dst_sel:DWORD dst_unused:UNUSED_PAD src0_sel:WORD_1 src1_sel:DWORD
	v_add_f16_e32 v63, v8, v57
	v_mov_b32_e32 v57, 0xba62
	v_mul_f16_sdwa v83, v54, v55 dst_sel:DWORD dst_unused:UNUSED_PAD src0_sel:WORD_1 src1_sel:DWORD
	v_mov_b32_e32 v3, 0xb8d2
	v_mul_f16_sdwa v78, v50, v76 dst_sel:DWORD dst_unused:UNUSED_PAD src0_sel:WORD_1 src1_sel:DWORD
	v_pk_fma_f16 v2, 0xbbdd, v13, v66 op_sel:[0,0,1] op_sel_hi:[0,1,0]
	v_pk_fma_f16 v10, 0xbbdd, v13, v66 op_sel:[0,0,1] op_sel_hi:[0,1,0] neg_lo:[0,0,1] neg_hi:[0,0,1]
	v_fmamk_f16 v62, v52, 0x3964, v79
	v_mul_f16_sdwa v84, v53, v64 dst_sel:DWORD dst_unused:UNUSED_PAD src0_sel:WORD_1 src1_sel:DWORD
	v_fmamk_f16 v66, v54, 0x3722, v82
	v_mul_f16_sdwa v85, v50, v57 dst_sel:DWORD dst_unused:UNUSED_PAD src0_sel:WORD_1 src1_sel:DWORD
	;; [unrolled: 2-line block ×3, first 2 shown]
	v_bfi_b32 v61, 0xffff, v4, v5
	v_fmamk_f16 v59, v53, 0x2de8, v78
	v_add_f16_sdwa v62, v8, v62 dst_sel:DWORD dst_unused:UNUSED_PAD src0_sel:WORD_1 src1_sel:DWORD
	v_fmamk_f16 v68, v50, 0x3bf7, v84
	v_add_f16_e32 v66, v8, v66
	v_fmamk_f16 v69, v53, 0xb8d2, v85
	v_add_f16_sdwa v67, v8, v67 dst_sel:DWORD dst_unused:UNUSED_PAD src0_sel:WORD_1 src1_sel:DWORD
	v_fmamk_f16 v70, v50, 0x3a62, v86
	v_pk_add_f16 v87, v61, v60
	v_add_f16_e32 v59, v59, v63
	v_add_f16_e32 v61, v68, v62
	;; [unrolled: 1-line block ×4, first 2 shown]
	v_mul_f16_sdwa v88, v48, v57 dst_sel:DWORD dst_unused:UNUSED_PAD src0_sel:WORD_1 src1_sel:DWORD
	v_mul_f16_sdwa v89, v51, v3 dst_sel:DWORD dst_unused:UNUSED_PAD src0_sel:WORD_1 src1_sel:DWORD
	v_mov_b32_e32 v67, 0x31e1
	v_mov_b32_e32 v60, 0xbbdd
	;; [unrolled: 1-line block ×3, first 2 shown]
	v_fmamk_f16 v68, v51, 0xb8d2, v88
	v_fmamk_f16 v69, v48, 0x3a62, v89
	v_mul_f16_sdwa v90, v48, v67 dst_sel:DWORD dst_unused:UNUSED_PAD src0_sel:WORD_1 src1_sel:DWORD
	v_mul_f16_sdwa v91, v51, v60 dst_sel:DWORD dst_unused:UNUSED_PAD src0_sel:WORD_1 src1_sel:DWORD
	v_mul_f16_sdwa v92, v46, v62 dst_sel:DWORD dst_unused:UNUSED_PAD src0_sel:WORD_1 src1_sel:DWORD
	v_add_f16_e32 v59, v68, v59
	v_add_f16_e32 v61, v69, v61
	v_fmamk_f16 v67, v51, 0xbbdd, v90
	v_fmamk_f16 v68, v48, 0xb1e1, v91
	;; [unrolled: 1-line block ×3, first 2 shown]
	v_mul_f16_sdwa v93, v49, v60 dst_sel:DWORD dst_unused:UNUSED_PAD src0_sel:WORD_1 src1_sel:DWORD
	v_mul_f16_sdwa v95, v46, v94 dst_sel:DWORD dst_unused:UNUSED_PAD src0_sel:WORD_1 src1_sel:DWORD
	v_add_f16_e32 v63, v67, v63
	v_add_f16_e32 v66, v68, v66
	;; [unrolled: 1-line block ×3, first 2 shown]
	v_fmamk_f16 v68, v46, 0x31e1, v93
	v_mov_b32_e32 v59, 0xb461
	v_fmamk_f16 v69, v49, 0xb461, v95
	v_mul_f16_sdwa v99, v40, v96 dst_sel:DWORD dst_unused:UNUSED_PAD src0_sel:WORD_1 src1_sel:DWORD
	v_mul_f16_sdwa v100, v47, v97 dst_sel:DWORD dst_unused:UNUSED_PAD src0_sel:WORD_1 src1_sel:DWORD
	v_add_f16_e32 v68, v68, v61
	v_mul_f16_sdwa v98, v49, v59 dst_sel:DWORD dst_unused:UNUSED_PAD src0_sel:WORD_1 src1_sel:DWORD
	v_mov_b32_e32 v61, 0x3964
	v_add_f16_e32 v63, v69, v63
	v_mul_f16_sdwa v102, v47, v56 dst_sel:DWORD dst_unused:UNUSED_PAD src0_sel:WORD_1 src1_sel:DWORD
	v_fmamk_f16 v70, v47, 0xbacd, v99
	v_fmamk_f16 v69, v46, 0xbbb2, v98
	v_mul_f16_sdwa v101, v40, v61 dst_sel:DWORD dst_unused:UNUSED_PAD src0_sel:WORD_1 src1_sel:DWORD
	v_fmamk_f16 v71, v40, 0xb836, v100
	v_fmamk_f16 v72, v40, 0xb964, v102
	v_add_f16_e32 v67, v70, v67
	v_add_f16_e32 v66, v69, v66
	v_fmamk_f16 v69, v47, 0x39e9, v101
	v_add_f16_e32 v68, v71, v68
	v_mul_f16_sdwa v103, v38, v94 dst_sel:DWORD dst_unused:UNUSED_PAD src0_sel:WORD_1 src1_sel:DWORD
	v_mul_f16_sdwa v104, v41, v59 dst_sel:DWORD dst_unused:UNUSED_PAD src0_sel:WORD_1 src1_sel:DWORD
	v_mov_b32_e32 v71, 0xb5c8
	v_add_f16_e32 v69, v69, v63
	v_mov_b32_e32 v70, 0x3b76
	v_mov_b32_e32 v63, 0x3b29
	v_add_f16_e32 v66, v72, v66
	v_fmamk_f16 v72, v41, 0xb461, v103
	v_fmamk_f16 v73, v38, 0xbbb2, v104
	v_mul_f16_sdwa v105, v38, v71 dst_sel:DWORD dst_unused:UNUSED_PAD src0_sel:WORD_1 src1_sel:DWORD
	v_mul_f16_sdwa v106, v41, v70 dst_sel:DWORD dst_unused:UNUSED_PAD src0_sel:WORD_1 src1_sel:DWORD
	;; [unrolled: 1-line block ×3, first 2 shown]
	v_add_f16_e32 v67, v72, v67
	v_add_f16_e32 v68, v73, v68
	v_fmamk_f16 v73, v41, 0x3b76, v105
	v_fmamk_f16 v107, v38, 0x35c8, v106
	;; [unrolled: 1-line block ×3, first 2 shown]
	v_mul_f16_sdwa v72, v39, v55 dst_sel:DWORD dst_unused:UNUSED_PAD src0_sel:WORD_1 src1_sel:DWORD
	v_mul_f16_sdwa v74, v12, v76 dst_sel:DWORD dst_unused:UNUSED_PAD src0_sel:WORD_1 src1_sel:DWORD
	v_add_f16_e32 v69, v73, v69
	v_add_f16_e32 v107, v107, v66
	;; [unrolled: 1-line block ×3, first 2 shown]
	v_fmamk_f16 v66, v12, 0xbb29, v72
	v_fmamk_f16 v67, v39, 0x2de8, v74
	v_mul_f16_sdwa v73, v39, v64 dst_sel:DWORD dst_unused:UNUSED_PAD src0_sel:WORD_1 src1_sel:DWORD
	v_bfi_b32 v81, 0xffff, v2, v10
	v_pk_add_f16 v0, v80, v0
	v_add_f16_e32 v111, v66, v68
	v_add_f16_e32 v112, v67, v69
	v_fmamk_f16 v113, v12, 0x3bf7, v73
	v_mul_f16_sdwa v69, v11, v109 dst_sel:DWORD dst_unused:UNUSED_PAD src0_sel:WORD_1 src1_sel:DWORD
	v_mul_f16_sdwa v67, v11, v110 dst_sel:DWORD dst_unused:UNUSED_PAD src0_sel:WORD_1 src1_sel:DWORD
	;; [unrolled: 1-line block ×4, first 2 shown]
	v_add_f16_e32 v107, v113, v107
	v_fmamk_f16 v113, v13, 0x3b76, v69
	v_fmamk_f16 v114, v13, 0xbacd, v67
	;; [unrolled: 1-line block ×4, first 2 shown]
	v_fma_f16 v77, v54, 0x39e9, -v77
	v_add_f16_e32 v80, v113, v108
	v_add_f16_e32 v108, v114, v112
	;; [unrolled: 1-line block ×4, first 2 shown]
	v_pk_add_f16 v81, v81, v87
	v_pk_add_f16 v0, v0, v1
	buffer_gl0_inv
	v_pack_b32_f16 v1, v108, v107
	v_pack_b32_f16 v80, v80, v111
	v_add_f16_e32 v77, v8, v77
	v_fma_f16 v78, v53, 0x2de8, -v78
	v_fmac_f16_e32 v79, 0xb964, v52
	ds_write2_b32 v9, v0, v81 offset1:1
	ds_write2_b32 v9, v80, v1 offset0:2 offset1:3
	v_fma_f16 v0, v54, 0x3722, -v82
	v_fmac_f16_e32 v83, 0xbb29, v52
	v_add_f16_e32 v1, v78, v77
	v_add_f16_sdwa v77, v8, v79 dst_sel:DWORD dst_unused:UNUSED_PAD src0_sel:WORD_1 src1_sel:DWORD
	v_fmac_f16_e32 v84, 0xbbf7, v50
	v_add_f16_e32 v0, v8, v0
	v_mul_f16_sdwa v78, v52, v76 dst_sel:DWORD dst_unused:UNUSED_PAD src0_sel:WORD_1 src1_sel:DWORD
	v_fma_f16 v79, v53, 0xb8d2, -v85
	v_mul_f16_sdwa v82, v54, v64 dst_sel:DWORD dst_unused:UNUSED_PAD src0_sel:WORD_1 src1_sel:DWORD
	v_add_f16_sdwa v80, v8, v83 dst_sel:DWORD dst_unused:UNUSED_PAD src0_sel:WORD_1 src1_sel:DWORD
	v_fmac_f16_e32 v86, 0xba62, v50
	v_add_f16_e32 v77, v84, v77
	v_fmamk_f16 v81, v54, 0x2de8, v78
	v_add_f16_e32 v79, v79, v0
	v_mul_f16_sdwa v83, v50, v62 dst_sel:DWORD dst_unused:UNUSED_PAD src0_sel:WORD_1 src1_sel:DWORD
	v_fmamk_f16 v84, v52, 0x3bf7, v82
	v_mul_f16_sdwa v85, v53, v60 dst_sel:DWORD dst_unused:UNUSED_PAD src0_sel:WORD_1 src1_sel:DWORD
	v_fma_f16 v78, v54, 0x2de8, -v78
	v_mov_b32_e32 v0, 0xbbb2
	v_add_f16_e32 v80, v86, v80
	v_add_f16_e32 v81, v8, v81
	v_fmamk_f16 v86, v53, 0xbbdd, v83
	v_add_f16_sdwa v84, v8, v84 dst_sel:DWORD dst_unused:UNUSED_PAD src0_sel:WORD_1 src1_sel:DWORD
	v_fmamk_f16 v87, v50, 0x31e1, v85
	v_add_f16_e32 v78, v8, v78
	v_fma_f16 v83, v53, 0xbbdd, -v83
	v_mul_f16_sdwa v107, v52, v0 dst_sel:DWORD dst_unused:UNUSED_PAD src0_sel:WORD_1 src1_sel:DWORD
	v_add_f16_e32 v81, v86, v81
	v_add_f16_e32 v84, v87, v84
	v_fmac_f16_e32 v82, 0xbbf7, v52
	v_add_f16_e32 v78, v83, v78
	v_fmamk_f16 v83, v54, 0xb461, v107
	v_mul_f16_sdwa v86, v50, v96 dst_sel:DWORD dst_unused:UNUSED_PAD src0_sel:WORD_1 src1_sel:DWORD
	v_mul_f16_sdwa v87, v54, v59 dst_sel:DWORD dst_unused:UNUSED_PAD src0_sel:WORD_1 src1_sel:DWORD
	v_add_f16_sdwa v82, v8, v82 dst_sel:DWORD dst_unused:UNUSED_PAD src0_sel:WORD_1 src1_sel:DWORD
	v_fmac_f16_e32 v85, 0xb1e1, v50
	v_add_f16_e32 v83, v8, v83
	v_fmamk_f16 v96, v53, 0xbacd, v86
	v_fmamk_f16 v108, v52, 0x3bb2, v87
	v_mul_f16_sdwa v111, v53, v97 dst_sel:DWORD dst_unused:UNUSED_PAD src0_sel:WORD_1 src1_sel:DWORD
	v_fma_f16 v107, v54, 0xb461, -v107
	v_fma_f16 v88, v51, 0xb8d2, -v88
	v_add_f16_e32 v82, v85, v82
	v_add_f16_e32 v83, v96, v83
	v_add_f16_sdwa v85, v8, v108 dst_sel:DWORD dst_unused:UNUSED_PAD src0_sel:WORD_1 src1_sel:DWORD
	v_fmamk_f16 v96, v50, 0xb836, v111
	v_add_f16_e32 v107, v8, v107
	v_fma_f16 v86, v53, 0xbacd, -v86
	v_mul_f16_sdwa v108, v52, v57 dst_sel:DWORD dst_unused:UNUSED_PAD src0_sel:WORD_1 src1_sel:DWORD
	v_add_f16_e32 v1, v88, v1
	v_fmac_f16_e32 v89, 0xba62, v48
	v_mul_f16_sdwa v88, v48, v94 dst_sel:DWORD dst_unused:UNUSED_PAD src0_sel:WORD_1 src1_sel:DWORD
	v_add_f16_e32 v85, v96, v85
	v_mul_f16_sdwa v96, v54, v3 dst_sel:DWORD dst_unused:UNUSED_PAD src0_sel:WORD_1 src1_sel:DWORD
	v_add_f16_e32 v86, v86, v107
	v_fmamk_f16 v107, v54, 0xb8d2, v108
	v_mul_f16_sdwa v112, v50, v94 dst_sel:DWORD dst_unused:UNUSED_PAD src0_sel:WORD_1 src1_sel:DWORD
	v_fma_f16 v108, v54, 0xb8d2, -v108
	v_fma_f16 v90, v51, 0xbbdd, -v90
	v_mul_f16_sdwa v94, v51, v59 dst_sel:DWORD dst_unused:UNUSED_PAD src0_sel:WORD_1 src1_sel:DWORD
	v_add_f16_e32 v77, v89, v77
	v_fmamk_f16 v89, v51, 0xb461, v88
	v_fma_f16 v88, v51, 0xb461, -v88
	v_fmac_f16_e32 v87, 0xbbb2, v52
	v_fmamk_f16 v113, v52, 0x3a62, v96
	v_mul_f16_sdwa v114, v53, v59 dst_sel:DWORD dst_unused:UNUSED_PAD src0_sel:WORD_1 src1_sel:DWORD
	v_fmamk_f16 v115, v53, 0xb461, v112
	v_add_f16_e32 v108, v8, v108
	v_fma_f16 v112, v53, 0xb461, -v112
	v_add_f16_e32 v79, v90, v79
	v_fmamk_f16 v90, v48, 0xbbb2, v94
	v_fmac_f16_e32 v94, 0x3bb2, v48
	v_add_f16_e32 v78, v88, v78
	v_mul_f16_sdwa v88, v48, v71 dst_sel:DWORD dst_unused:UNUSED_PAD src0_sel:WORD_1 src1_sel:DWORD
	v_add_f16_sdwa v87, v8, v87 dst_sel:DWORD dst_unused:UNUSED_PAD src0_sel:WORD_1 src1_sel:DWORD
	v_fmac_f16_e32 v111, 0x3836, v50
	v_add_f16_sdwa v113, v8, v113 dst_sel:DWORD dst_unused:UNUSED_PAD src0_sel:WORD_1 src1_sel:DWORD
	v_fmamk_f16 v116, v50, 0xbbb2, v114
	v_add_f16_e32 v108, v112, v108
	v_fmac_f16_e32 v91, 0x31e1, v48
	v_add_f16_e32 v82, v94, v82
	v_fmamk_f16 v94, v51, 0x3b76, v88
	v_fma_f16 v88, v51, 0x3b76, -v88
	v_fma_f16 v92, v49, 0xbbdd, -v92
	v_add_f16_e32 v107, v8, v107
	v_add_f16_e32 v87, v111, v87
	v_fmac_f16_e32 v96, 0xba62, v52
	v_add_f16_e32 v111, v116, v113
	v_mul_f16_sdwa v113, v52, v110 dst_sel:DWORD dst_unused:UNUSED_PAD src0_sel:WORD_1 src1_sel:DWORD
	v_add_f16_e32 v80, v91, v80
	v_mul_f16_sdwa v91, v48, v61 dst_sel:DWORD dst_unused:UNUSED_PAD src0_sel:WORD_1 src1_sel:DWORD
	;; [unrolled: 2-line block ×3, first 2 shown]
	v_add_f16_e32 v1, v92, v1
	v_fmac_f16_e32 v93, 0xb1e1, v46
	v_fma_f16 v92, v49, 0xb461, -v95
	v_mul_f16_sdwa v109, v49, v70 dst_sel:DWORD dst_unused:UNUSED_PAD src0_sel:WORD_1 src1_sel:DWORD
	v_add_f16_e32 v107, v115, v107
	v_add_f16_sdwa v96, v8, v96 dst_sel:DWORD dst_unused:UNUSED_PAD src0_sel:WORD_1 src1_sel:DWORD
	v_fmac_f16_e32 v114, 0x3bb2, v50
	v_fmamk_f16 v115, v54, 0xbacd, v113
	v_mul_f16_sdwa v116, v50, v63 dst_sel:DWORD dst_unused:UNUSED_PAD src0_sel:WORD_1 src1_sel:DWORD
	v_fma_f16 v113, v54, 0xbacd, -v113
	v_add_f16_e32 v81, v89, v81
	v_add_f16_e32 v84, v90, v84
	v_fmamk_f16 v89, v51, 0x39e9, v91
	v_mul_f16_sdwa v90, v51, v56 dst_sel:DWORD dst_unused:UNUSED_PAD src0_sel:WORD_1 src1_sel:DWORD
	v_fmac_f16_e32 v98, 0x3bb2, v46
	v_fmamk_f16 v95, v49, 0x3b76, v108
	v_add_f16_e32 v77, v93, v77
	v_add_f16_e32 v79, v92, v79
	v_fmamk_f16 v92, v46, 0xb5c8, v109
	v_mul_f16_sdwa v93, v46, v65 dst_sel:DWORD dst_unused:UNUSED_PAD src0_sel:WORD_1 src1_sel:DWORD
	v_add_f16_e32 v96, v114, v96
	v_add_f16_e32 v112, v8, v115
	v_fmamk_f16 v114, v53, 0x3722, v116
	v_mul_f16_sdwa v115, v54, v97 dst_sel:DWORD dst_unused:UNUSED_PAD src0_sel:WORD_1 src1_sel:DWORD
	v_add_f16_e32 v113, v8, v113
	v_fma_f16 v116, v53, 0x3722, -v116
	v_add_f16_e32 v83, v89, v83
	v_fmamk_f16 v89, v48, 0xb964, v90
	v_fma_f16 v91, v51, 0x39e9, -v91
	v_add_f16_e32 v80, v98, v80
	v_add_f16_e32 v81, v95, v81
	v_fma_f16 v95, v49, 0x3b76, -v108
	v_mul_f16_sdwa v98, v49, v55 dst_sel:DWORD dst_unused:UNUSED_PAD src0_sel:WORD_1 src1_sel:DWORD
	v_add_f16_e32 v84, v92, v84
	v_fmamk_f16 v92, v49, 0x3722, v93
	v_add_f16_e32 v112, v114, v112
	v_fmamk_f16 v114, v52, 0x3836, v115
	v_mul_f16_sdwa v117, v53, v55 dst_sel:DWORD dst_unused:UNUSED_PAD src0_sel:WORD_1 src1_sel:DWORD
	v_add_f16_e32 v113, v116, v113
	v_fmac_f16_e32 v90, 0x3964, v48
	v_mul_f16_sdwa v116, v51, v70 dst_sel:DWORD dst_unused:UNUSED_PAD src0_sel:WORD_1 src1_sel:DWORD
	v_add_f16_e32 v85, v89, v85
	v_add_f16_e32 v86, v91, v86
	;; [unrolled: 1-line block ×3, first 2 shown]
	v_fmamk_f16 v95, v46, 0x3b29, v98
	v_mul_f16_sdwa v108, v46, v110 dst_sel:DWORD dst_unused:UNUSED_PAD src0_sel:WORD_1 src1_sel:DWORD
	v_add_f16_e32 v83, v92, v83
	v_fma_f16 v92, v49, 0x3722, -v93
	v_add_f16_sdwa v114, v8, v114 dst_sel:DWORD dst_unused:UNUSED_PAD src0_sel:WORD_1 src1_sel:DWORD
	v_fmamk_f16 v118, v50, 0xbb29, v117
	v_add_f16_e32 v87, v90, v87
	v_add_f16_e32 v89, v94, v107
	v_fmamk_f16 v90, v48, 0x35c8, v116
	v_mul_f16_sdwa v76, v48, v76 dst_sel:DWORD dst_unused:UNUSED_PAD src0_sel:WORD_1 src1_sel:DWORD
	v_fmac_f16_e32 v116, 0xb5c8, v48
	v_mul_f16_sdwa v91, v51, v64 dst_sel:DWORD dst_unused:UNUSED_PAD src0_sel:WORD_1 src1_sel:DWORD
	v_fmac_f16_e32 v109, 0x35c8, v46
	v_fmac_f16_e32 v98, 0xbb29, v46
	v_add_f16_e32 v85, v95, v85
	v_fmamk_f16 v93, v49, 0xbacd, v108
	v_mul_f16_sdwa v95, v49, v97 dst_sel:DWORD dst_unused:UNUSED_PAD src0_sel:WORD_1 src1_sel:DWORD
	v_add_f16_e32 v86, v92, v86
	v_mov_b32_e32 v92, 0x3a62
	v_add_f16_e32 v114, v118, v114
	v_add_f16_e32 v90, v90, v111
	v_fmamk_f16 v94, v51, 0x2de8, v76
	v_add_f16_e32 v96, v116, v96
	v_fmamk_f16 v107, v48, 0x3bf7, v91
	v_fma_f16 v76, v51, 0x2de8, -v76
	v_add_f16_e32 v82, v109, v82
	v_add_f16_e32 v87, v98, v87
	;; [unrolled: 1-line block ×3, first 2 shown]
	v_fmamk_f16 v93, v46, 0x3836, v95
	v_fma_f16 v98, v49, 0xbacd, -v108
	v_fmac_f16_e32 v95, 0xb836, v46
	v_mul_f16_sdwa v108, v46, v92 dst_sel:DWORD dst_unused:UNUSED_PAD src0_sel:WORD_1 src1_sel:DWORD
	v_mul_f16_sdwa v109, v49, v3 dst_sel:DWORD dst_unused:UNUSED_PAD src0_sel:WORD_1 src1_sel:DWORD
	v_add_f16_e32 v94, v94, v112
	v_add_f16_e32 v107, v107, v114
	;; [unrolled: 1-line block ×6, first 2 shown]
	v_fmamk_f16 v95, v49, 0xb8d2, v108
	v_fmamk_f16 v96, v46, 0xba62, v109
	v_fma_f16 v98, v49, 0xb8d2, -v108
	v_fma_f16 v99, v47, 0xbacd, -v99
	v_mul_f16_sdwa v65, v40, v65 dst_sel:DWORD dst_unused:UNUSED_PAD src0_sel:WORD_1 src1_sel:DWORD
	v_add_f16_e32 v94, v95, v94
	v_add_f16_e32 v95, v96, v107
	;; [unrolled: 1-line block ×4, first 2 shown]
	v_fmac_f16_e32 v100, 0x3836, v40
	v_mul_f16_sdwa v96, v47, v55 dst_sel:DWORD dst_unused:UNUSED_PAD src0_sel:WORD_1 src1_sel:DWORD
	v_fma_f16 v98, v47, 0x39e9, -v101
	v_fmamk_f16 v99, v47, 0x3722, v65
	v_fma_f16 v65, v47, 0x3722, -v65
	v_add_f16_e32 v77, v100, v77
	v_fmamk_f16 v100, v40, 0x3b29, v96
	v_add_f16_e32 v79, v98, v79
	v_add_f16_e32 v81, v99, v81
	v_mul_f16_sdwa v98, v40, v62 dst_sel:DWORD dst_unused:UNUSED_PAD src0_sel:WORD_1 src1_sel:DWORD
	v_fmac_f16_e32 v96, 0xbb29, v40
	v_mov_b32_e32 v99, 0x3bf7
	v_fmac_f16_e32 v102, 0x3964, v40
	v_add_f16_e32 v84, v100, v84
	v_fmamk_f16 v100, v47, 0xbbdd, v98
	v_mul_f16_sdwa v101, v47, v60 dst_sel:DWORD dst_unused:UNUSED_PAD src0_sel:WORD_1 src1_sel:DWORD
	v_add_f16_e32 v65, v65, v78
	v_add_f16_e32 v78, v96, v82
	v_mul_f16_sdwa v82, v40, v99 dst_sel:DWORD dst_unused:UNUSED_PAD src0_sel:WORD_1 src1_sel:DWORD
	v_add_f16_e32 v80, v102, v80
	v_add_f16_e32 v83, v100, v83
	v_fmamk_f16 v96, v40, 0x31e1, v101
	v_fma_f16 v98, v47, 0xbbdd, -v98
	v_fmamk_f16 v100, v47, 0x2de8, v82
	v_mul_f16_sdwa v102, v47, v64 dst_sel:DWORD dst_unused:UNUSED_PAD src0_sel:WORD_1 src1_sel:DWORD
	v_fma_f16 v82, v47, 0x2de8, -v82
	v_add_f16_e32 v85, v96, v85
	v_add_f16_e32 v86, v98, v86
	v_add_f16_e32 v89, v100, v89
	v_fmamk_f16 v96, v40, 0xbbf7, v102
	v_fmac_f16_e32 v102, 0x3bf7, v40
	v_mul_f16_sdwa v98, v40, v71 dst_sel:DWORD dst_unused:UNUSED_PAD src0_sel:WORD_1 src1_sel:DWORD
	v_mul_f16_sdwa v100, v47, v70 dst_sel:DWORD dst_unused:UNUSED_PAD src0_sel:WORD_1 src1_sel:DWORD
	v_fmac_f16_e32 v101, 0xb1e1, v40
	v_add_f16_e32 v90, v96, v90
	v_add_f16_e32 v82, v82, v88
	;; [unrolled: 1-line block ×3, first 2 shown]
	v_fmamk_f16 v93, v47, 0x3b76, v98
	v_fmamk_f16 v96, v40, 0x35c8, v100
	v_add_f16_e32 v87, v101, v87
	v_fma_f16 v98, v47, 0x3b76, -v98
	v_fma_f16 v101, v41, 0xb461, -v103
	v_add_f16_e32 v93, v93, v94
	v_add_f16_e32 v94, v96, v95
	v_mul_f16_sdwa v95, v38, v110 dst_sel:DWORD dst_unused:UNUSED_PAD src0_sel:WORD_1 src1_sel:DWORD
	v_fma_f16 v96, v41, 0x3b76, -v105
	v_mul_f16_sdwa v97, v41, v97 dst_sel:DWORD dst_unused:UNUSED_PAD src0_sel:WORD_1 src1_sel:DWORD
	v_add_f16_e32 v76, v98, v76
	v_add_f16_e32 v1, v101, v1
	v_fmac_f16_e32 v104, 0x3bb2, v38
	v_fmac_f16_e32 v106, 0xb5c8, v38
	v_fmamk_f16 v98, v41, 0xbacd, v95
	v_add_f16_e32 v79, v96, v79
	v_fmamk_f16 v96, v38, 0x3836, v97
	v_mul_f16_sdwa v99, v38, v99 dst_sel:DWORD dst_unused:UNUSED_PAD src0_sel:WORD_1 src1_sel:DWORD
	v_fma_f16 v95, v41, 0xbacd, -v95
	v_fmac_f16_e32 v97, 0xb836, v38
	v_mul_f16_sdwa v64, v41, v64 dst_sel:DWORD dst_unused:UNUSED_PAD src0_sel:WORD_1 src1_sel:DWORD
	v_mul_f16_sdwa v58, v38, v58 dst_sel:DWORD dst_unused:UNUSED_PAD src0_sel:WORD_1 src1_sel:DWORD
	v_fma_f16 v75, v39, 0x3722, -v75
	v_add_f16_e32 v77, v104, v77
	v_add_f16_e32 v80, v106, v80
	;; [unrolled: 1-line block ×4, first 2 shown]
	v_fmamk_f16 v96, v41, 0x2de8, v99
	v_add_f16_e32 v65, v95, v65
	v_add_f16_e32 v78, v97, v78
	v_fmamk_f16 v95, v38, 0xbbf7, v64
	v_fmac_f16_e32 v64, 0x3bf7, v38
	v_fmamk_f16 v97, v41, 0x39e9, v58
	v_mul_f16_sdwa v98, v41, v56 dst_sel:DWORD dst_unused:UNUSED_PAD src0_sel:WORD_1 src1_sel:DWORD
	v_add_f16_e32 v1, v75, v1
	v_fmac_f16_e32 v72, 0x3b29, v12
	v_mul_f16_sdwa v75, v12, v92 dst_sel:DWORD dst_unused:UNUSED_PAD src0_sel:WORD_1 src1_sel:DWORD
	v_fma_f16 v74, v39, 0x2de8, -v74
	v_fmac_f16_e32 v73, 0xbbf7, v12
	v_mul_f16_sdwa v92, v39, v3 dst_sel:DWORD dst_unused:UNUSED_PAD src0_sel:WORD_1 src1_sel:DWORD
	v_mul_f16_sdwa v71, v12, v71 dst_sel:DWORD dst_unused:UNUSED_PAD src0_sel:WORD_1 src1_sel:DWORD
	v_add_f16_e32 v83, v96, v83
	v_add_f16_e32 v85, v95, v85
	;; [unrolled: 1-line block ×4, first 2 shown]
	v_fmamk_f16 v89, v38, 0x3964, v98
	v_fma_f16 v58, v41, 0x39e9, -v58
	v_fmac_f16_e32 v98, 0xb964, v38
	v_mul_f16_sdwa v95, v38, v62 dst_sel:DWORD dst_unused:UNUSED_PAD src0_sel:WORD_1 src1_sel:DWORD
	v_add_f16_e32 v72, v72, v77
	v_fmamk_f16 v77, v39, 0xb8d2, v75
	v_add_f16_e32 v74, v74, v79
	v_add_f16_e32 v73, v73, v80
	v_fmamk_f16 v79, v12, 0xba62, v92
	v_fma_f16 v75, v39, 0xb8d2, -v75
	v_fmac_f16_e32 v92, 0x3a62, v12
	v_fmamk_f16 v80, v39, 0x3b76, v71
	v_mul_f16_sdwa v62, v12, v62 dst_sel:DWORD dst_unused:UNUSED_PAD src0_sel:WORD_1 src1_sel:DWORD
	v_add_f16_e32 v58, v58, v82
	v_add_f16_e32 v82, v98, v88
	v_fmamk_f16 v88, v41, 0xbbdd, v95
	v_add_f16_e32 v77, v77, v81
	v_mul_f16_sdwa v70, v39, v70 dst_sel:DWORD dst_unused:UNUSED_PAD src0_sel:WORD_1 src1_sel:DWORD
	v_add_f16_e32 v65, v75, v65
	v_add_f16_e32 v75, v92, v78
	;; [unrolled: 1-line block ×3, first 2 shown]
	v_fmamk_f16 v81, v39, 0xbbdd, v62
	v_fma_f16 v62, v39, 0xbbdd, -v62
	v_mul_f16_sdwa v83, v12, v61 dst_sel:DWORD dst_unused:UNUSED_PAD src0_sel:WORD_1 src1_sel:DWORD
	v_fma_f16 v69, v13, 0x3b76, -v69
	v_mul_f16_sdwa v61, v11, v61 dst_sel:DWORD dst_unused:UNUSED_PAD src0_sel:WORD_1 src1_sel:DWORD
	v_fma_f16 v67, v13, 0xbacd, -v67
	v_fmac_f16_e32 v66, 0xb836, v11
	v_mul_f16_sdwa v57, v11, v57 dst_sel:DWORD dst_unused:UNUSED_PAD src0_sel:WORD_1 src1_sel:DWORD
	v_mul_f16_sdwa v63, v11, v63 dst_sel:DWORD dst_unused:UNUSED_PAD src0_sel:WORD_1 src1_sel:DWORD
	v_fma_f16 v96, v41, 0x2de8, -v99
	v_add_f16_e32 v88, v88, v93
	v_fmamk_f16 v80, v12, 0x35c8, v70
	v_add_f16_e32 v58, v62, v58
	v_fmamk_f16 v62, v39, 0x39e9, v83
	;; [unrolled: 2-line block ×3, first 2 shown]
	v_add_f16_e32 v67, v67, v74
	v_add_f16_e32 v66, v66, v73
	v_fma_f16 v61, v13, 0x39e9, -v61
	v_fmamk_f16 v73, v13, 0xb8d2, v57
	v_mul_f16_sdwa v3, v13, v3 dst_sel:DWORD dst_unused:UNUSED_PAD src0_sel:WORD_1 src1_sel:DWORD
	v_fmamk_f16 v74, v13, 0x3722, v63
	v_fma_f16 v63, v13, 0x3722, -v63
	v_mul_f16_sdwa v0, v11, v0 dst_sel:DWORD dst_unused:UNUSED_PAD src0_sel:WORD_1 src1_sel:DWORD
	v_add_f16_e32 v86, v96, v86
	v_fma_f16 v71, v39, 0x3b76, -v71
	v_add_f16_e32 v80, v80, v85
	v_add_f16_e32 v62, v62, v88
	;; [unrolled: 1-line block ×4, first 2 shown]
	v_fmamk_f16 v73, v11, 0x3a62, v3
	v_add_f16_e32 v58, v63, v58
	v_fmamk_f16 v63, v13, 0xb461, v0
	v_pk_mul_f16 v54, 0xbbdd, v54 op_sel_hi:[0,1]
	v_fmac_f16_e32 v70, 0xb5c8, v12
	v_add_f16_e32 v71, v71, v86
	v_fma_f16 v57, v13, 0xb8d2, -v57
	v_add_f16_e32 v73, v73, v80
	v_add_f16_e32 v62, v63, v62
	v_pk_fma_f16 v63, 0xb1e1, v52, v54 op_sel:[0,0,1] op_sel_hi:[0,1,0]
	v_pk_mul_f16 v53, 0x3b76, v53 op_sel_hi:[0,1]
	v_fmac_f16_e32 v115, 0xb836, v52
	v_add_f16_e32 v64, v70, v64
	v_add_f16_e32 v70, v81, v87
	v_fmac_f16_e32 v3, 0xba62, v11
	v_add_f16_e32 v57, v57, v71
	v_pack_b32_f16 v65, v65, v73
	v_alignbit_b32 v71, s0, v63, 16
	v_pk_fma_f16 v73, 0x35c8, v50, v53 op_sel:[0,0,1] op_sel_hi:[0,1,0]
	v_pk_fma_f16 v52, 0xb1e1, v52, v54 op_sel:[0,0,1] op_sel_hi:[0,1,0] neg_lo:[0,1,0] neg_hi:[0,1,0]
	v_alignbit_b32 v54, s0, v8, 16
	v_pk_mul_f16 v51, 0xbacd, v51 op_sel_hi:[0,1]
	v_fmac_f16_e32 v117, 0x3b29, v50
	v_add_f16_e32 v3, v3, v64
	v_add_f16_e32 v64, v74, v70
	v_pk_add_f16 v71, v8, v71
	v_alignbit_b32 v74, s0, v73, 16
	v_pk_fma_f16 v50, 0x35c8, v50, v53 op_sel:[0,0,1] op_sel_hi:[0,1,0] neg_lo:[0,1,0] neg_hi:[0,1,0]
	v_pk_add_f16 v52, v8, v52 op_sel:[1,0] op_sel_hi:[0,1]
	v_pk_fma_f16 v53, 0xb836, v48, v51 op_sel:[0,0,1] op_sel_hi:[0,1,0]
	v_pk_add_f16 v54, v54, v63
	v_pk_mul_f16 v49, 0x39e9, v49 op_sel_hi:[0,1]
	v_fmac_f16_e32 v91, 0xbbf7, v48
	v_pk_add_f16 v63, v74, v71
	v_pk_add_f16 v50, v50, v52
	v_alignbit_b32 v52, s0, v53, 16
	v_pk_fma_f16 v48, 0xb836, v48, v51 op_sel:[0,0,1] op_sel_hi:[0,1,0] neg_lo:[0,1,0] neg_hi:[0,1,0]
	v_pk_fma_f16 v51, 0x3964, v46, v49 op_sel:[0,0,1] op_sel_hi:[0,1,0]
	v_pk_add_f16 v54, v73, v54
	v_pk_mul_f16 v47, 0xb8d2, v47 op_sel_hi:[0,1]
	v_fmac_f16_e32 v109, 0x3a62, v46
	v_mul_f16_sdwa v96, v41, v60 dst_sel:DWORD dst_unused:UNUSED_PAD src0_sel:WORD_1 src1_sel:DWORD
	v_fma_f16 v95, v41, 0xbbdd, -v95
	v_pk_add_f16 v52, v52, v63
	v_pk_add_f16 v48, v48, v50
	v_alignbit_b32 v50, s0, v51, 16
	v_pk_fma_f16 v46, 0x3964, v46, v49 op_sel:[0,0,1] op_sel_hi:[0,1,0] neg_lo:[0,1,0] neg_hi:[0,1,0]
	v_pk_fma_f16 v49, 0xba62, v40, v47 op_sel:[0,0,1] op_sel_hi:[0,1,0]
	v_pk_add_f16 v53, v53, v54
	v_pk_mul_f16 v41, 0x3722, v41 op_sel_hi:[0,1]
	v_add_f16_sdwa v115, v8, v115 dst_sel:DWORD dst_unused:UNUSED_PAD src0_sel:WORD_1 src1_sel:DWORD
	v_mul_f16_sdwa v60, v39, v60 dst_sel:DWORD dst_unused:UNUSED_PAD src0_sel:WORD_1 src1_sel:DWORD
	v_fmac_f16_e32 v100, 0xb5c8, v40
	v_add_f16_e32 v79, v79, v84
	v_mul_f16_sdwa v84, v39, v56 dst_sel:DWORD dst_unused:UNUSED_PAD src0_sel:WORD_1 src1_sel:DWORD
	v_fma_f16 v83, v39, 0x39e9, -v83
	v_pk_add_f16 v50, v50, v52
	v_pk_add_f16 v46, v46, v48
	v_alignbit_b32 v48, s0, v49, 16
	v_pk_fma_f16 v40, 0xba62, v40, v47 op_sel:[0,0,1] op_sel_hi:[0,1,0] neg_lo:[0,1,0] neg_hi:[0,1,0]
	v_pk_fma_f16 v47, 0x3b29, v38, v41 op_sel:[0,0,1] op_sel_hi:[0,1,0]
	v_pk_add_f16 v51, v51, v53
	v_pk_mul_f16 v39, 0xb461, v39 op_sel_hi:[0,1]
	v_add_f16_e32 v115, v117, v115
	v_add_f16_e32 v89, v89, v90
	v_fmamk_f16 v90, v38, 0x31e1, v96
	v_fmamk_f16 v81, v12, 0x31e1, v60
	v_fmac_f16_e32 v60, 0xb1e1, v12
	v_mul_f16_sdwa v55, v13, v55 dst_sel:DWORD dst_unused:UNUSED_PAD src0_sel:WORD_1 src1_sel:DWORD
	v_fmac_f16_e32 v96, 0xb1e1, v38
	v_mul_f16_sdwa v56, v13, v56 dst_sel:DWORD dst_unused:UNUSED_PAD src0_sel:WORD_1 src1_sel:DWORD
	v_mul_f16_sdwa v59, v13, v59 dst_sel:DWORD dst_unused:UNUSED_PAD src0_sel:WORD_1 src1_sel:DWORD
	v_fma_f16 v0, v13, 0xb461, -v0
	v_pk_add_f16 v48, v48, v50
	v_pk_add_f16 v40, v40, v46
	v_alignbit_b32 v46, s0, v47, 16
	v_pk_fma_f16 v38, 0x3b29, v38, v41 op_sel:[0,0,1] op_sel_hi:[0,1,0] neg_lo:[0,1,0] neg_hi:[0,1,0]
	v_pk_fma_f16 v41, 0xbbb2, v12, v39 op_sel:[0,0,1] op_sel_hi:[0,1,0]
	v_pk_add_f16 v49, v49, v51
	v_bfi_b32 v36, 0xffff, v37, v36
	v_pk_mul_f16 v13, 0x2de8, v13 op_sel_hi:[0,1]
	v_add_f16_e32 v91, v91, v115
	v_add_f16_e32 v90, v90, v94
	;; [unrolled: 1-line block ×3, first 2 shown]
	v_fmamk_f16 v82, v12, 0xb964, v84
	v_fmac_f16_e32 v68, 0x35c8, v11
	v_fmamk_f16 v70, v11, 0xbb29, v55
	v_fmac_f16_e32 v55, 0x3b29, v11
	v_fmac_f16_e32 v84, 0x3964, v12
	v_pk_add_f16 v46, v46, v48
	v_pk_add_f16 v38, v38, v40
	v_alignbit_b32 v40, s0, v41, 16
	v_pk_add_f16 v37, v47, v49
	v_pk_fma_f16 v12, 0xbbb2, v12, v39 op_sel:[0,0,1] op_sel_hi:[0,1,0] neg_lo:[0,1,0] neg_hi:[0,1,0]
	v_pk_add_f16 v8, v8, v36
	v_pk_fma_f16 v36, 0x3bf7, v11, v13 op_sel:[0,0,1] op_sel_hi:[0,1,0]
	v_add_f16_e32 v91, v109, v91
	v_add_f16_e32 v81, v81, v89
	;; [unrolled: 1-line block ×4, first 2 shown]
	v_fmamk_f16 v72, v11, 0xb964, v56
	v_add_f16_e32 v55, v55, v60
	v_fmamk_f16 v60, v11, 0x3bb2, v59
	v_bfi_b32 v34, 0xffff, v35, v34
	v_fmac_f16_e32 v56, 0x3964, v11
	v_fmac_f16_e32 v59, 0xbbb2, v11
	v_pk_add_f16 v39, v40, v46
	v_pk_add_f16 v12, v12, v38
	v_pk_fma_f16 v11, 0x3bf7, v11, v13 op_sel:[0,0,1] op_sel_hi:[0,1,0] neg_lo:[0,1,0] neg_hi:[0,1,0]
	v_pk_add_f16 v13, v41, v37
	v_alignbit_b32 v35, s0, v36, 16
	v_add_f16_e32 v91, v100, v91
	v_add_f16_e32 v69, v69, v77
	;; [unrolled: 1-line block ×5, first 2 shown]
	v_pk_add_f16 v8, v34, v8
	v_bfi_b32 v32, 0xffff, v33, v32
	v_pk_add_f16 v11, v11, v12
	v_pk_add_f16 v12, v36, v13
	v_pk_add_f16 v13, v35, v39
	v_add_f16_e32 v76, v95, v76
	v_add_f16_e32 v91, v96, v91
	v_pack_b32_f16 v50, v69, v72
	v_pack_b32_f16 v33, v62, v60
	v_pk_add_f16 v8, v32, v8
	v_bfi_b32 v30, 0xffff, v31, v30
	v_pack_b32_f16 v31, v64, v70
	v_alignbit_b32 v12, v12, v11, 16
	v_pack_b32_f16 v11, v13, v11
	v_add_f16_e32 v76, v83, v76
	v_add_f16_e32 v83, v84, v91
	ds_write2_b32 v9, v50, v65 offset0:4 offset1:5
	v_pk_add_f16 v8, v30, v8
	v_bfi_b32 v13, 0xffff, v15, v14
	ds_write2_b32 v9, v31, v33 offset0:6 offset1:7
	ds_write2_b32 v9, v11, v12 offset0:8 offset1:9
	v_subrev_nc_u32_e32 v31, 17, v16
	v_cmp_gt_u32_e64 s0, 17, v16
	v_add_f16_e32 v0, v0, v76
	v_add_f16_e32 v59, v59, v83
	v_pk_add_f16 v8, v13, v8
	v_bfi_b32 v6, 0xffff, v7, v6
	v_cndmask_b32_e64 v30, v31, v16, s0
	v_bfi_b32 v4, 0xffff, v5, v4
	v_pack_b32_f16 v7, v0, v59
	v_mov_b32_e32 v33, 0
	v_pk_add_f16 v0, v6, v8
	v_lshlrev_b32_e32 v32, 4, v30
	v_pack_b32_f16 v5, v1, v68
	v_bfi_b32 v2, 0xffff, v10, v2
	v_add_f16_e32 v56, v56, v75
	v_pk_add_f16 v4, v4, v0
	v_lshlrev_b64 v[0:1], 2, v[32:33]
	v_pack_b32_f16 v11, v58, v55
	v_pack_b32_f16 v3, v57, v3
	;; [unrolled: 1-line block ×3, first 2 shown]
	v_pk_add_f16 v2, v2, v4
	v_pack_b32_f16 v6, v67, v66
	v_add_co_u32 v0, s1, s8, v0
	v_add_co_ci_u32_e64 v1, s1, s9, v1, s1
	ds_write2_b32 v9, v7, v11 offset0:10 offset1:11
	ds_write2_b32 v9, v3, v12 offset0:12 offset1:13
	;; [unrolled: 1-line block ×3, first 2 shown]
	ds_write_b32 v9, v2 offset:64
	s_waitcnt lgkmcnt(0)
	s_barrier
	buffer_gl0_inv
	s_clause 0x3
	global_load_dwordx4 v[4:7], v[0:1], off
	global_load_dwordx4 v[8:11], v[0:1], off offset:16
	global_load_dwordx4 v[12:15], v[0:1], off offset:32
	;; [unrolled: 1-line block ×3, first 2 shown]
	v_lshl_add_u32 v52, v27, 2, v44
	v_lshl_add_u32 v51, v29, 2, v44
	ds_read_b32 v39, v52
	ds_read_b32 v38, v51
	v_lshl_add_u32 v50, v25, 2, v44
	v_lshl_add_u32 v49, v24, 2, v44
	v_lshl_add_u32 v48, v23, 2, v44
	v_lshl_add_u32 v47, v22, 2, v44
	v_lshl_add_u32 v46, v21, 2, v44
	ds_read_b32 v37, v50
	ds_read_b32 v36, v49
	;; [unrolled: 1-line block ×6, first 2 shown]
	v_cmp_lt_u32_e64 s1, 16, v16
	v_lshlrev_b32_e32 v30, 2, v30
	s_waitcnt lgkmcnt(7)
	v_lshrrev_b32_e32 v40, 16, v39
	s_waitcnt lgkmcnt(6)
	v_lshrrev_b32_e32 v41, 16, v38
	;; [unrolled: 2-line block ×4, first 2 shown]
	v_lshrrev_b32_e32 v56, 16, v37
	s_waitcnt lgkmcnt(1)
	v_lshrrev_b32_e32 v61, 16, v32
	s_waitcnt vmcnt(3)
	v_mul_f16_sdwa v54, v4, v40 dst_sel:DWORD dst_unused:UNUSED_PAD src0_sel:WORD_1 src1_sel:DWORD
	v_mul_f16_sdwa v53, v4, v39 dst_sel:DWORD dst_unused:UNUSED_PAD src0_sel:WORD_1 src1_sel:DWORD
	;; [unrolled: 1-line block ×3, first 2 shown]
	v_mul_f16_sdwa v58, v37, v6 dst_sel:DWORD dst_unused:UNUSED_PAD src0_sel:DWORD src1_sel:WORD_1
	s_waitcnt vmcnt(2)
	v_mul_f16_sdwa v60, v35, v8 dst_sel:DWORD dst_unused:UNUSED_PAD src0_sel:DWORD src1_sel:WORD_1
	v_fmac_f16_e32 v54, v4, v39
	v_mul_f16_sdwa v39, v5, v38 dst_sel:DWORD dst_unused:UNUSED_PAD src0_sel:WORD_1 src1_sel:DWORD
	v_fma_f16 v40, v4, v40, -v53
	v_lshl_add_u32 v53, v20, 2, v44
	v_fmac_f16_e32 v55, v5, v38
	v_mul_f16_sdwa v38, v56, v6 dst_sel:DWORD dst_unused:UNUSED_PAD src0_sel:DWORD src1_sel:WORD_1
	v_fma_f16 v39, v5, v41, -v39
	ds_read2_b32 v[4:5], v26 offset0:50 offset1:84
	ds_read_b32 v41, v53
	v_fma_f16 v56, v56, v6, -v58
	v_fmac_f16_e32 v38, v37, v6
	v_mul_f16_sdwa v37, v57, v7 dst_sel:DWORD dst_unused:UNUSED_PAD src0_sel:DWORD src1_sel:WORD_1
	v_mul_f16_sdwa v6, v36, v7 dst_sel:DWORD dst_unused:UNUSED_PAD src0_sel:DWORD src1_sel:WORD_1
	v_lshrrev_b32_e32 v58, 16, v34
	v_mul_f16_sdwa v66, v61, v10 dst_sel:DWORD dst_unused:UNUSED_PAD src0_sel:DWORD src1_sel:WORD_1
	v_fmac_f16_e32 v37, v36, v7
	v_mul_f16_sdwa v36, v59, v8 dst_sel:DWORD dst_unused:UNUSED_PAD src0_sel:DWORD src1_sel:WORD_1
	v_mul_f16_sdwa v65, v58, v9 dst_sel:DWORD dst_unused:UNUSED_PAD src0_sel:DWORD src1_sel:WORD_1
	v_fma_f16 v57, v57, v7, -v6
	ds_read2_b32 v[6:7], v26 offset0:118 offset1:152
	v_fmac_f16_e32 v66, v32, v10
	v_fmac_f16_e32 v36, v35, v8
	v_fma_f16 v35, v59, v8, -v60
	v_mul_f16_sdwa v8, v34, v9 dst_sel:DWORD dst_unused:UNUSED_PAD src0_sel:DWORD src1_sel:WORD_1
	v_fmac_f16_e32 v65, v34, v9
	v_mul_f16_sdwa v34, v32, v10 dst_sel:DWORD dst_unused:UNUSED_PAD src0_sel:DWORD src1_sel:WORD_1
	s_waitcnt lgkmcnt(2)
	v_lshrrev_b32_e32 v32, 16, v4
	v_add_f16_sdwa v59, v40, v64 dst_sel:DWORD dst_unused:UNUSED_PAD src0_sel:DWORD src1_sel:WORD_1
	v_fma_f16 v67, v58, v9, -v8
	s_waitcnt lgkmcnt(1)
	v_lshrrev_b32_e32 v8, 16, v41
	v_mul_f16_sdwa v9, v41, v11 dst_sel:DWORD dst_unused:UNUSED_PAD src0_sel:DWORD src1_sel:WORD_1
	v_add_f16_e32 v58, v54, v64
	s_waitcnt vmcnt(1)
	v_mul_f16_sdwa v69, v32, v12 dst_sel:DWORD dst_unused:UNUSED_PAD src0_sel:DWORD src1_sel:WORD_1
	v_fma_f16 v10, v61, v10, -v34
	v_mul_f16_sdwa v68, v8, v11 dst_sel:DWORD dst_unused:UNUSED_PAD src0_sel:DWORD src1_sel:WORD_1
	v_fma_f16 v71, v8, v11, -v9
	v_add_f16_e32 v8, v58, v55
	v_lshrrev_b32_e32 v34, 16, v5
	v_fmac_f16_e32 v69, v4, v12
	v_mul_f16_sdwa v60, v4, v12 dst_sel:DWORD dst_unused:UNUSED_PAD src0_sel:DWORD src1_sel:WORD_1
	v_fmac_f16_e32 v68, v41, v11
	v_add_f16_e32 v58, v8, v38
	v_mul_f16_sdwa v70, v34, v13 dst_sel:DWORD dst_unused:UNUSED_PAD src0_sel:DWORD src1_sel:WORD_1
	s_waitcnt lgkmcnt(0)
	v_lshrrev_b32_e32 v11, 16, v6
	ds_read2_b32 v[8:9], v26 offset0:186 offset1:220
	v_lshrrev_b32_e32 v41, 16, v7
	v_add_f16_e32 v4, v58, v37
	v_add_f16_e32 v58, v59, v39
	v_fmac_f16_e32 v70, v5, v13
	v_mul_f16_sdwa v72, v11, v14 dst_sel:DWORD dst_unused:UNUSED_PAD src0_sel:DWORD src1_sel:WORD_1
	v_mul_f16_sdwa v59, v5, v13 dst_sel:DWORD dst_unused:UNUSED_PAD src0_sel:DWORD src1_sel:WORD_1
	v_add_f16_e32 v61, v4, v36
	v_add_f16_e32 v58, v58, v56
	ds_read2_b32 v[4:5], v17 offset0:126 offset1:160
	v_fmac_f16_e32 v72, v6, v14
	v_mul_f16_sdwa v6, v6, v14 dst_sel:DWORD dst_unused:UNUSED_PAD src0_sel:DWORD src1_sel:WORD_1
	v_add_f16_e32 v61, v61, v65
	v_add_f16_e32 v58, v58, v57
	v_fma_f16 v73, v32, v12, -v60
	v_fma_f16 v32, v34, v13, -v59
	v_mul_f16_sdwa v62, v41, v15 dst_sel:DWORD dst_unused:UNUSED_PAD src0_sel:DWORD src1_sel:WORD_1
	v_add_f16_e32 v12, v61, v66
	v_add_f16_e32 v13, v58, v35
	v_fma_f16 v6, v11, v14, -v6
	s_waitcnt lgkmcnt(1)
	v_lshrrev_b32_e32 v34, 16, v8
	v_fmac_f16_e32 v62, v7, v15
	v_add_f16_e32 v11, v12, v68
	v_add_f16_e32 v12, v13, v67
	v_mul_f16_sdwa v7, v7, v15 dst_sel:DWORD dst_unused:UNUSED_PAD src0_sel:DWORD src1_sel:WORD_1
	v_lshrrev_b32_e32 v58, 16, v9
	s_waitcnt vmcnt(0)
	v_mul_f16_sdwa v13, v34, v0 dst_sel:DWORD dst_unused:UNUSED_PAD src0_sel:DWORD src1_sel:WORD_1
	v_add_f16_e32 v11, v11, v69
	v_add_f16_e32 v12, v12, v10
	v_fma_f16 v7, v41, v15, -v7
	s_waitcnt lgkmcnt(0)
	v_lshrrev_b32_e32 v41, 16, v5
	v_lshrrev_b32_e32 v15, 16, v4
	v_add_f16_e32 v11, v11, v70
	v_add_f16_e32 v12, v12, v71
	v_mul_f16_sdwa v14, v58, v1 dst_sel:DWORD dst_unused:UNUSED_PAD src0_sel:DWORD src1_sel:WORD_1
	v_mul_f16_sdwa v74, v41, v3 dst_sel:DWORD dst_unused:UNUSED_PAD src0_sel:DWORD src1_sel:WORD_1
	v_fmac_f16_e32 v13, v8, v0
	v_add_f16_e32 v11, v11, v72
	v_add_f16_e32 v12, v12, v73
	v_mul_f16_sdwa v8, v8, v0 dst_sel:DWORD dst_unused:UNUSED_PAD src0_sel:DWORD src1_sel:WORD_1
	v_mul_f16_sdwa v59, v15, v2 dst_sel:DWORD dst_unused:UNUSED_PAD src0_sel:DWORD src1_sel:WORD_1
	v_fmac_f16_e32 v74, v5, v3
	v_add_f16_e32 v11, v11, v62
	v_add_f16_e32 v12, v12, v32
	v_mul_f16_sdwa v5, v5, v3 dst_sel:DWORD dst_unused:UNUSED_PAD src0_sel:DWORD src1_sel:WORD_1
	v_fmac_f16_e32 v14, v9, v1
	v_mul_f16_sdwa v9, v9, v1 dst_sel:DWORD dst_unused:UNUSED_PAD src0_sel:DWORD src1_sel:WORD_1
	v_fmac_f16_e32 v59, v4, v2
	v_mul_f16_sdwa v4, v4, v2 dst_sel:DWORD dst_unused:UNUSED_PAD src0_sel:DWORD src1_sel:WORD_1
	v_add_f16_e32 v11, v11, v13
	v_add_f16_e32 v12, v12, v6
	v_fma_f16 v0, v34, v0, -v8
	v_fma_f16 v34, v41, v3, -v5
	;; [unrolled: 1-line block ×3, first 2 shown]
	v_add_f16_e32 v9, v11, v14
	v_add_f16_e32 v11, v12, v7
	v_fma_f16 v4, v15, v2, -v4
	v_sub_f16_e32 v77, v40, v34
	v_add_f16_e32 v80, v40, v34
	v_add_f16_e32 v78, v54, v74
	;; [unrolled: 1-line block ×3, first 2 shown]
	v_sub_f16_e32 v79, v54, v74
	v_mul_f16_e32 v81, 0xb5c8, v77
	v_sub_f16_e32 v82, v39, v4
	v_mul_f16_e32 v84, 0x3b76, v80
	v_add_f16_e32 v85, v39, v4
	v_cndmask_b32_e64 v8, 0, 0x484, s1
	v_add_f16_e32 v40, v2, v1
	v_add_f16_e32 v83, v55, v59
	v_fmamk_f16 v2, v78, 0x3b76, v81
	v_mul_f16_e32 v86, 0xb964, v82
	v_sub_f16_e32 v87, v55, v59
	v_fmamk_f16 v3, v79, 0x35c8, v84
	v_mul_f16_e32 v88, 0x39e9, v85
	v_sub_f16_e32 v89, v56, v1
	v_add_f16_e32 v90, v56, v1
	v_add_nc_u32_e32 v75, 0, v8
	v_add_f16_e32 v2, v2, v64
	v_fmamk_f16 v5, v83, 0x39e9, v86
	v_add_f16_sdwa v3, v3, v64 dst_sel:DWORD dst_unused:UNUSED_PAD src0_sel:DWORD src1_sel:WORD_1
	v_fmamk_f16 v8, v87, 0x3964, v88
	v_add_f16_e32 v91, v38, v14
	v_mul_f16_e32 v92, 0xbb29, v89
	v_sub_f16_e32 v93, v38, v14
	v_mul_f16_e32 v94, 0x3722, v90
	v_add_f16_e32 v60, v57, v0
	v_add_f16_e32 v76, v9, v59
	v_add_f16_e32 v1, v5, v2
	v_add_f16_e32 v2, v8, v3
	v_fmamk_f16 v3, v91, 0x3722, v92
	v_sub_f16_e32 v61, v57, v0
	v_fmamk_f16 v0, v93, 0x3b29, v94
	v_add_f16_e32 v58, v37, v13
	v_sub_f16_e32 v59, v37, v13
	v_mul_f16_e32 v96, 0x2de8, v60
	v_add_f16_e32 v37, v35, v7
	v_mul_f16_e32 v95, 0xbbf7, v61
	v_add_f16_e32 v1, v3, v1
	v_add_f16_e32 v0, v0, v2
	v_sub_f16_e32 v38, v35, v7
	v_fmamk_f16 v3, v59, 0x3bf7, v96
	v_add_f16_e32 v35, v36, v62
	v_sub_f16_e32 v36, v36, v62
	v_mul_f16_e32 v62, 0xb461, v37
	v_add_f16_e32 v13, v67, v6
	v_fmamk_f16 v2, v58, 0x2de8, v95
	v_mul_f16_e32 v63, 0xbbb2, v38
	v_add_f16_e32 v0, v3, v0
	v_sub_f16_e32 v14, v67, v6
	v_fmamk_f16 v3, v36, 0x3bb2, v62
	v_sub_f16_e32 v12, v65, v72
	v_mul_f16_e32 v39, 0xb8d2, v13
	v_add_f16_e32 v1, v2, v1
	v_fmamk_f16 v2, v35, 0xb461, v63
	v_add_f16_e32 v11, v65, v72
	v_mul_f16_e32 v41, 0xba62, v14
	v_add_f16_e32 v0, v3, v0
	v_sub_f16_e32 v8, v10, v32
	v_fmamk_f16 v3, v12, 0x3a62, v39
	v_add_f16_e32 v7, v10, v32
	v_add_f16_e32 v1, v2, v1
	v_fmamk_f16 v2, v11, 0xb8d2, v41
	v_add_f16_e32 v5, v66, v70
	v_mul_f16_e32 v32, 0xb836, v8
	v_sub_f16_e32 v6, v66, v70
	v_mul_f16_e32 v15, 0xbacd, v7
	v_add_f16_e32 v55, v3, v0
	v_sub_f16_e32 v3, v71, v73
	v_add_f16_e32 v54, v2, v1
	v_fmamk_f16 v56, v5, 0xbacd, v32
	v_fmamk_f16 v57, v6, 0x3836, v15
	v_add_f16_e32 v1, v68, v69
	v_mul_f16_e32 v10, 0xb1e1, v3
	v_add_f16_e32 v4, v40, v4
	v_mul_f16_e32 v65, 0xb964, v77
	v_add_f16_e32 v2, v71, v73
	v_sub_f16_e32 v0, v68, v69
	v_add_f16_e32 v40, v56, v54
	v_add_f16_e32 v54, v57, v55
	v_fmamk_f16 v55, v1, 0xbbdd, v10
	v_add_f16_e32 v67, v4, v34
	v_fmamk_f16 v4, v78, 0x39e9, v65
	v_mul_f16_e32 v68, 0xbbf7, v82
	v_mul_f16_e32 v70, 0x39e9, v80
	v_mul_f16_e32 v9, 0xbbdd, v2
	v_add_f16_e32 v69, v55, v40
	v_add_f16_e32 v34, v4, v64
	v_fmamk_f16 v40, v83, 0x2de8, v68
	v_add3_u32 v4, v75, v30, v28
	v_fmamk_f16 v28, v79, 0x3964, v70
	v_mul_f16_e32 v72, 0x2de8, v85
	v_mul_f16_e32 v73, 0xbb29, v77
	v_fmamk_f16 v56, v0, 0x31e1, v9
	v_add_f16_e32 v66, v76, v74
	v_add_f16_e32 v30, v40, v34
	v_mul_f16_e32 v74, 0x3722, v80
	v_add_f16_sdwa v28, v28, v64 dst_sel:DWORD dst_unused:UNUSED_PAD src0_sel:DWORD src1_sel:WORD_1
	v_fmamk_f16 v34, v87, 0x3bf7, v72
	v_fmamk_f16 v40, v78, 0x3722, v73
	v_mul_f16_e32 v75, 0xba62, v82
	v_add_f16_e32 v71, v56, v54
	v_fmamk_f16 v54, v79, 0x3b29, v74
	v_mul_f16_e32 v76, 0xb8d2, v85
	v_add_f16_e32 v28, v34, v28
	v_add_f16_e32 v34, v40, v64
	v_fmamk_f16 v40, v83, 0xb8d2, v75
	v_mul_f16_e32 v97, 0xba62, v89
	v_mul_f16_e32 v98, 0xb8d2, v90
	v_add_f16_sdwa v54, v54, v64 dst_sel:DWORD dst_unused:UNUSED_PAD src0_sel:DWORD src1_sel:WORD_1
	v_fmamk_f16 v55, v87, 0x3a62, v76
	v_add_f16_e32 v34, v40, v34
	v_fmamk_f16 v40, v91, 0xb8d2, v97
	v_mul_f16_e32 v99, 0x31e1, v89
	v_mul_f16_e32 v100, 0xbbdd, v90
	v_fmamk_f16 v56, v93, 0x3a62, v98
	v_add_f16_e32 v54, v55, v54
	v_add_f16_e32 v30, v40, v30
	v_fmamk_f16 v40, v91, 0xbbdd, v99
	v_fmamk_f16 v55, v93, 0xb1e1, v100
	v_mul_f16_e32 v101, 0xb1e1, v61
	v_mul_f16_e32 v102, 0xbbdd, v60
	v_add_f16_e32 v28, v56, v28
	v_mul_f16_e32 v103, 0x3bb2, v61
	v_add_f16_e32 v34, v40, v34
	v_add_f16_e32 v40, v55, v54
	v_fmamk_f16 v54, v58, 0xbbdd, v101
	v_fmamk_f16 v55, v59, 0x31e1, v102
	v_mul_f16_e32 v104, 0xb461, v60
	v_mul_f16_e32 v105, 0x3836, v38
	v_fmamk_f16 v56, v58, 0xb461, v103
	v_add_f16_e32 v30, v54, v30
	v_add_f16_e32 v28, v55, v28
	v_fmamk_f16 v54, v59, 0xbbb2, v104
	v_fmamk_f16 v55, v35, 0xbacd, v105
	v_mul_f16_e32 v106, 0xbacd, v37
	v_mul_f16_e32 v107, 0x3964, v38
	v_add_f16_e32 v34, v56, v34
	v_mul_f16_e32 v108, 0x39e9, v37
	v_add_f16_e32 v40, v54, v40
	v_add_f16_e32 v30, v55, v30
	v_fmamk_f16 v54, v36, 0xb836, v106
	v_fmamk_f16 v55, v35, 0x39e9, v107
	v_mul_f16_e32 v109, 0x3bb2, v14
	v_mul_f16_e32 v110, 0xb461, v13
	v_fmamk_f16 v56, v36, 0xb964, v108
	v_add_f16_e32 v28, v54, v28
	v_add_f16_e32 v34, v55, v34
	v_fmamk_f16 v54, v11, 0xb461, v109
	v_fmamk_f16 v55, v12, 0xbbb2, v110
	v_mul_f16_e32 v111, 0xb5c8, v14
	v_mul_f16_e32 v112, 0x3b76, v13
	v_add_f16_e32 v40, v56, v40
	v_add_f16_e32 v30, v54, v30
	;; [unrolled: 1-line block ×3, first 2 shown]
	v_fmamk_f16 v55, v11, 0x3b76, v111
	v_fmamk_f16 v113, v12, 0x35c8, v112
	v_mul_f16_e32 v54, 0x3722, v7
	v_mul_f16_e32 v57, 0x3b29, v8
	;; [unrolled: 1-line block ×3, first 2 shown]
	v_add_f16_e32 v34, v55, v34
	v_add_f16_e32 v113, v113, v40
	v_fmamk_f16 v40, v6, 0xbb29, v54
	v_mul_f16_e32 v55, 0x2de8, v7
	v_fmamk_f16 v114, v5, 0x3722, v57
	v_pack_b32_f16 v66, v66, v67
	v_pack_b32_f16 v67, v69, v71
	v_add_f16_e32 v115, v40, v28
	v_fmamk_f16 v28, v6, 0x3bf7, v55
	v_mul_f16_e32 v40, 0x35c8, v3
	v_add_f16_e32 v30, v114, v30
	v_fmamk_f16 v114, v5, 0x2de8, v56
	v_fma_f16 v65, v78, 0x39e9, -v65
	v_add_f16_e32 v113, v28, v113
	v_fmamk_f16 v28, v1, 0x3b76, v40
	v_fmac_f16_e32 v70, 0xb964, v79
	v_add_f16_e32 v114, v114, v34
	v_mul_f16_e32 v34, 0xb836, v3
	v_add_f16_e32 v116, v28, v30
	v_mul_f16_e32 v28, 0x3b76, v2
	s_barrier
	buffer_gl0_inv
	v_fmac_f16_e32 v74, 0xbb29, v79
	v_add_f16_e32 v65, v65, v64
	v_fmamk_f16 v30, v0, 0xb5c8, v28
	v_add_f16_sdwa v70, v70, v64 dst_sel:DWORD dst_unused:UNUSED_PAD src0_sel:DWORD src1_sel:WORD_1
	v_fma_f16 v68, v83, 0x2de8, -v68
	v_fmac_f16_e32 v72, 0xbbf7, v87
	v_add_f16_sdwa v74, v74, v64 dst_sel:DWORD dst_unused:UNUSED_PAD src0_sel:DWORD src1_sel:WORD_1
	v_add_f16_e32 v115, v30, v115
	v_fmamk_f16 v30, v1, 0xbacd, v34
	v_add_f16_e32 v65, v68, v65
	v_add_f16_e32 v68, v72, v70
	v_fma_f16 v70, v83, 0xb8d2, -v75
	v_pack_b32_f16 v69, v116, v115
	v_add_f16_e32 v114, v30, v114
	v_mul_f16_e32 v30, 0xbacd, v2
	v_fmac_f16_e32 v76, 0xba62, v87
	v_mul_f16_e32 v72, 0xb1e1, v82
	v_mul_f16_e32 v119, 0xb461, v80
	v_mul_f16_e32 v121, 0xb8d2, v80
	v_fmamk_f16 v117, v0, 0x3836, v30
	v_mul_f16_e32 v122, 0xbacd, v80
	v_fmac_f16_e32 v84, 0xb5c8, v79
	v_fmamk_f16 v120, v79, 0x3bb2, v119
	v_fmac_f16_e32 v119, 0xbbb2, v79
	v_add_f16_e32 v113, v117, v113
	v_fmamk_f16 v123, v79, 0x3a62, v121
	v_fmac_f16_e32 v121, 0xba62, v79
	v_fmamk_f16 v124, v79, 0x3836, v122
	v_fmac_f16_e32 v122, 0xb836, v79
	v_pack_b32_f16 v71, v114, v113
	ds_write2_b32 v4, v66, v67 offset1:17
	ds_write2_b32 v4, v69, v71 offset0:34 offset1:51
	v_mul_f16_e32 v66, 0xbbf7, v77
	v_fma_f16 v71, v78, 0x3722, -v73
	v_fma_f16 v67, v78, 0x3b76, -v81
	v_mul_f16_e32 v69, 0xbbb2, v77
	v_mul_f16_e32 v81, 0xba62, v77
	v_fmamk_f16 v73, v78, 0x2de8, v66
	v_mul_f16_e32 v114, 0xb836, v77
	v_mul_f16_e32 v77, 0xb1e1, v77
	v_add_f16_e32 v71, v71, v64
	v_fma_f16 v66, v78, 0x2de8, -v66
	v_fmamk_f16 v113, v78, 0xb461, v69
	v_fma_f16 v69, v78, 0xb461, -v69
	v_fmamk_f16 v115, v78, 0xb8d2, v81
	;; [unrolled: 2-line block ×4, first 2 shown]
	v_fma_f16 v77, v78, 0xbbdd, -v77
	v_mul_f16_e32 v78, 0x2de8, v80
	v_add_f16_e32 v73, v73, v64
	v_add_f16_e32 v70, v70, v71
	;; [unrolled: 1-line block ×3, first 2 shown]
	v_fmamk_f16 v74, v83, 0xbbdd, v72
	v_fmamk_f16 v118, v79, 0x3bf7, v78
	v_fmac_f16_e32 v78, 0xbbf7, v79
	v_mul_f16_e32 v80, 0xbbdd, v80
	v_add_f16_e32 v66, v66, v64
	v_add_f16_e32 v73, v74, v73
	v_mul_f16_e32 v74, 0xbbdd, v85
	v_add_f16_sdwa v78, v78, v64 dst_sel:DWORD dst_unused:UNUSED_PAD src0_sel:DWORD src1_sel:WORD_1
	v_fmamk_f16 v125, v79, 0x31e1, v80
	v_fmac_f16_e32 v80, 0xb1e1, v79
	v_fma_f16 v72, v83, 0xbbdd, -v72
	v_fmamk_f16 v75, v87, 0x31e1, v74
	v_fmac_f16_e32 v74, 0xb1e1, v87
	v_add_f16_e32 v67, v67, v64
	v_add_f16_sdwa v79, v84, v64 dst_sel:DWORD dst_unused:UNUSED_PAD src0_sel:DWORD src1_sel:WORD_1
	v_add_f16_sdwa v84, v118, v64 dst_sel:DWORD dst_unused:UNUSED_PAD src0_sel:DWORD src1_sel:WORD_1
	v_add_f16_e32 v113, v113, v64
	v_add_f16_sdwa v118, v120, v64 dst_sel:DWORD dst_unused:UNUSED_PAD src0_sel:DWORD src1_sel:WORD_1
	v_add_f16_e32 v69, v69, v64
	;; [unrolled: 2-line block ×8, first 2 shown]
	v_add_f16_sdwa v64, v80, v64 dst_sel:DWORD dst_unused:UNUSED_PAD src0_sel:DWORD src1_sel:WORD_1
	v_fma_f16 v80, v83, 0x39e9, -v86
	v_add_f16_e32 v66, v72, v66
	v_add_f16_e32 v72, v74, v78
	v_mul_f16_e32 v74, 0x3836, v82
	v_mul_f16_e32 v78, 0xbacd, v85
	v_add_f16_e32 v67, v80, v67
	v_fmac_f16_e32 v88, 0xb964, v87
	v_mul_f16_e32 v86, 0xb461, v85
	v_fmamk_f16 v76, v83, 0xbacd, v74
	v_fmamk_f16 v80, v87, 0xb836, v78
	v_fma_f16 v74, v83, 0xbacd, -v74
	v_fmac_f16_e32 v78, 0x3836, v87
	v_add_f16_e32 v79, v88, v79
	v_add_f16_e32 v75, v75, v84
	v_fmamk_f16 v88, v87, 0xbbb2, v86
	v_add_f16_e32 v69, v74, v69
	v_add_f16_e32 v74, v78, v119
	v_mul_f16_e32 v78, 0x3bb2, v82
	v_fmac_f16_e32 v86, 0x3bb2, v87
	v_add_f16_e32 v76, v76, v113
	v_fmac_f16_e32 v94, 0xbb29, v93
	v_fmac_f16_e32 v98, 0xba62, v93
	v_fmamk_f16 v84, v83, 0xb461, v78
	v_fma_f16 v78, v83, 0xb461, -v78
	v_add_f16_e32 v80, v80, v118
	v_add_f16_e32 v79, v94, v79
	;; [unrolled: 1-line block ×6, first 2 shown]
	v_mul_f16_e32 v86, 0x3b29, v82
	v_mul_f16_e32 v82, 0x35c8, v82
	;; [unrolled: 1-line block ×4, first 2 shown]
	v_add_f16_e32 v88, v88, v120
	v_fmamk_f16 v113, v83, 0x3722, v86
	v_fma_f16 v86, v83, 0x3722, -v86
	v_fmac_f16_e32 v100, 0x31e1, v93
	v_fmac_f16_e32 v96, 0xbbf7, v59
	v_fma_f16 v63, v35, 0xb461, -v63
	v_add_f16_e32 v113, v113, v116
	v_add_f16_e32 v86, v86, v114
	v_fmamk_f16 v114, v83, 0x3b76, v82
	v_fma_f16 v82, v83, 0x3b76, -v82
	v_mul_f16_e32 v83, 0x3b76, v85
	v_fmamk_f16 v116, v87, 0xbb29, v115
	v_fmac_f16_e32 v115, 0x3b29, v87
	v_add_f16_e32 v114, v114, v117
	v_add_f16_e32 v77, v82, v77
	v_fmamk_f16 v85, v87, 0xb5c8, v83
	v_fmac_f16_e32 v83, 0x35c8, v87
	v_fma_f16 v82, v91, 0x3722, -v92
	v_fma_f16 v92, v91, 0xb8d2, -v97
	v_mul_f16_e32 v97, 0x3964, v89
	v_add_f16_e32 v87, v115, v122
	v_add_f16_e32 v64, v83, v64
	;; [unrolled: 1-line block ×4, first 2 shown]
	v_mul_f16_e32 v82, 0x3bb2, v89
	v_fma_f16 v83, v91, 0xbbdd, -v99
	v_mul_f16_e32 v92, 0xb461, v90
	v_add_f16_e32 v116, v116, v123
	v_add_f16_e32 v71, v100, v71
	v_fmamk_f16 v94, v91, 0xb461, v82
	v_add_f16_e32 v70, v83, v70
	v_fmamk_f16 v83, v93, 0xbbb2, v92
	v_fma_f16 v82, v91, 0xb461, -v82
	v_fmac_f16_e32 v92, 0x3bb2, v93
	v_add_f16_e32 v73, v94, v73
	v_mul_f16_e32 v94, 0x39e9, v90
	v_add_f16_e32 v75, v83, v75
	v_fmamk_f16 v83, v91, 0x39e9, v97
	v_add_f16_e32 v66, v82, v66
	v_mul_f16_e32 v82, 0xb5c8, v89
	v_add_f16_e32 v72, v92, v72
	v_fma_f16 v92, v91, 0x39e9, -v97
	v_add_f16_e32 v76, v83, v76
	v_fmamk_f16 v83, v93, 0xb964, v94
	v_fmamk_f16 v97, v91, 0x3b76, v82
	v_fmac_f16_e32 v94, 0x3964, v93
	v_add_f16_e32 v69, v92, v69
	v_mul_f16_e32 v92, 0xbbf7, v89
	v_add_f16_e32 v80, v83, v80
	v_add_f16_e32 v83, v97, v84
	v_fmamk_f16 v84, v93, 0x35c8, v98
	v_mul_f16_e32 v89, 0xb836, v89
	v_add_f16_e32 v74, v94, v74
	v_mul_f16_e32 v94, 0x2de8, v90
	v_mul_f16_e32 v90, 0xbacd, v90
	v_add_f16_e32 v84, v84, v88
	v_fmamk_f16 v88, v91, 0x2de8, v92
	v_fma_f16 v92, v91, 0x2de8, -v92
	v_fma_f16 v82, v91, 0x3b76, -v82
	v_fmamk_f16 v97, v93, 0x3836, v90
	v_fmac_f16_e32 v90, 0xb836, v93
	v_fmac_f16_e32 v98, 0xb5c8, v93
	v_add_f16_e32 v86, v92, v86
	v_fmamk_f16 v92, v91, 0xbacd, v89
	v_fma_f16 v89, v91, 0xbacd, -v89
	v_add_f16_e32 v78, v82, v78
	v_fmamk_f16 v82, v93, 0x3bf7, v94
	v_fmac_f16_e32 v94, 0xbbf7, v93
	v_add_f16_e32 v91, v92, v114
	v_fma_f16 v92, v58, 0x2de8, -v95
	v_fma_f16 v93, v58, 0xbbdd, -v101
	v_add_f16_e32 v77, v89, v77
	v_add_f16_e32 v64, v90, v64
	v_mul_f16_e32 v89, 0x35c8, v61
	v_add_f16_e32 v67, v92, v67
	v_fma_f16 v90, v58, 0xb461, -v103
	v_mul_f16_e32 v92, 0x3b76, v60
	v_add_f16_e32 v87, v94, v87
	v_add_f16_e32 v65, v93, v65
	v_fmamk_f16 v93, v58, 0x3b76, v89
	v_add_f16_e32 v70, v90, v70
	v_fmamk_f16 v90, v59, 0xb5c8, v92
	v_mul_f16_e32 v94, 0xbb29, v61
	v_fmac_f16_e32 v92, 0x35c8, v59
	v_add_f16_e32 v73, v93, v73
	v_mul_f16_e32 v93, 0x3722, v60
	v_add_f16_e32 v75, v90, v75
	v_fmamk_f16 v90, v58, 0x3722, v94
	v_fma_f16 v89, v58, 0x3b76, -v89
	v_add_f16_e32 v72, v92, v72
	v_fma_f16 v92, v58, 0x3722, -v94
	v_mul_f16_e32 v95, 0xbacd, v60
	v_add_f16_e32 v76, v90, v76
	v_fmamk_f16 v90, v59, 0x3b29, v93
	v_add_f16_e32 v66, v89, v66
	v_mul_f16_e32 v89, 0xb836, v61
	v_fmac_f16_e32 v93, 0xbb29, v59
	v_add_f16_e32 v69, v92, v69
	v_add_f16_e32 v80, v90, v80
	v_fmamk_f16 v90, v59, 0x3836, v95
	v_mul_f16_e32 v92, 0x3a62, v61
	v_add_f16_e32 v88, v88, v113
	v_fmamk_f16 v94, v58, 0xbacd, v89
	v_add_f16_e32 v74, v93, v74
	v_fma_f16 v89, v58, 0xbacd, -v89
	v_mul_f16_e32 v93, 0xb8d2, v60
	v_add_f16_e32 v84, v90, v84
	v_fmamk_f16 v90, v58, 0xb8d2, v92
	v_mul_f16_e32 v60, 0x39e9, v60
	v_add_f16_e32 v82, v82, v116
	v_add_f16_e32 v78, v89, v78
	v_fmamk_f16 v89, v59, 0xba62, v93
	v_add_f16_e32 v88, v90, v88
	v_mul_f16_e32 v61, 0x3964, v61
	v_fmamk_f16 v90, v59, 0xb964, v60
	v_fmac_f16_e32 v60, 0x3964, v59
	v_add_f16_e32 v79, v96, v79
	v_fmac_f16_e32 v104, 0x3bb2, v59
	v_fma_f16 v92, v58, 0xb8d2, -v92
	v_add_f16_e32 v82, v89, v82
	v_fmamk_f16 v89, v58, 0x39e9, v61
	v_fma_f16 v58, v58, 0x39e9, -v61
	v_fmac_f16_e32 v62, 0xbbb2, v36
	v_add_f16_e32 v60, v60, v64
	v_fma_f16 v64, v35, 0xbacd, -v105
	v_add_f16_e32 v63, v63, v67
	v_mul_f16_e32 v67, 0xbb29, v38
	v_add_f16_e32 v71, v104, v71
	v_add_f16_e32 v58, v58, v77
	;; [unrolled: 1-line block ×4, first 2 shown]
	v_fma_f16 v65, v35, 0x39e9, -v107
	v_fmac_f16_e32 v108, 0x3964, v36
	v_mul_f16_e32 v77, 0x3722, v37
	v_fmamk_f16 v79, v35, 0x3722, v67
	v_fmac_f16_e32 v93, 0x3a62, v59
	v_add_f16_e32 v65, v65, v70
	v_add_f16_e32 v70, v108, v71
	v_fmamk_f16 v71, v36, 0x3b29, v77
	v_add_f16_e32 v73, v79, v73
	v_mul_f16_e32 v79, 0xb1e1, v38
	v_fmac_f16_e32 v102, 0xb1e1, v59
	v_fmac_f16_e32 v95, 0xb836, v59
	v_add_f16_e32 v59, v93, v87
	v_fma_f16 v67, v35, 0x3722, -v67
	v_fmac_f16_e32 v77, 0xbb29, v36
	v_mul_f16_e32 v87, 0xbbdd, v37
	v_add_f16_e32 v71, v71, v75
	v_fmamk_f16 v75, v35, 0xbbdd, v79
	v_add_f16_e32 v81, v98, v81
	v_add_f16_e32 v66, v67, v66
	v_add_f16_e32 v67, v77, v72
	v_fmamk_f16 v72, v36, 0x31e1, v87
	v_mul_f16_e32 v77, 0x3bf7, v38
	v_add_f16_e32 v75, v75, v76
	v_fma_f16 v76, v35, 0xbbdd, -v79
	v_fmac_f16_e32 v87, 0xb1e1, v36
	v_mul_f16_e32 v79, 0x2de8, v37
	v_add_f16_e32 v83, v94, v83
	v_add_f16_e32 v81, v95, v81
	v_add_f16_e32 v61, v89, v91
	v_fmamk_f16 v89, v35, 0x2de8, v77
	v_add_f16_e32 v69, v76, v69
	v_add_f16_e32 v74, v87, v74
	v_fmamk_f16 v76, v36, 0xbbf7, v79
	v_fma_f16 v77, v35, 0x2de8, -v77
	v_fmac_f16_e32 v79, 0x3bf7, v36
	v_mul_f16_e32 v87, 0x3b76, v37
	v_add_f16_e32 v72, v72, v80
	v_add_f16_e32 v80, v89, v83
	v_mul_f16_e32 v83, 0xb5c8, v38
	v_add_f16_e32 v77, v77, v78
	v_add_f16_e32 v78, v79, v81
	v_fmamk_f16 v79, v36, 0x35c8, v87
	v_mul_f16_e32 v38, 0xba62, v38
	v_add_f16_e32 v76, v76, v84
	v_fmamk_f16 v84, v35, 0x3b76, v83
	v_mul_f16_e32 v37, 0xb8d2, v37
	v_add_f16_e32 v79, v79, v82
	v_fmamk_f16 v82, v35, 0xb8d2, v38
	v_add_f16_e32 v68, v102, v68
	v_fmac_f16_e32 v106, 0x3836, v36
	v_fma_f16 v81, v35, 0x3b76, -v83
	v_add_f16_e32 v83, v84, v88
	v_fmamk_f16 v84, v36, 0x3a62, v37
	v_fma_f16 v35, v35, 0xb8d2, -v38
	v_fmac_f16_e32 v37, 0xba62, v36
	v_add_f16_e32 v38, v82, v61
	v_fmac_f16_e32 v39, 0xba62, v12
	v_fma_f16 v61, v11, 0xb461, -v109
	v_add_f16_e32 v68, v106, v68
	v_fma_f16 v41, v11, 0xb8d2, -v41
	v_add_f16_e32 v35, v35, v58
	v_add_f16_e32 v37, v37, v60
	;; [unrolled: 1-line block ×4, first 2 shown]
	v_fmac_f16_e32 v110, 0x3bb2, v12
	v_mul_f16_e32 v60, 0xb836, v14
	v_fma_f16 v61, v11, 0x3b76, -v111
	v_fmac_f16_e32 v112, 0xb5c8, v12
	v_mul_f16_e32 v62, 0xbacd, v13
	v_add_f16_e32 v41, v41, v63
	v_add_f16_e32 v63, v110, v68
	v_fmamk_f16 v64, v11, 0xbacd, v60
	v_add_f16_e32 v61, v61, v65
	v_add_f16_e32 v65, v112, v70
	v_fmamk_f16 v68, v12, 0x3836, v62
	v_mul_f16_e32 v70, 0x3bf7, v14
	v_fma_f16 v60, v11, 0xbacd, -v60
	v_add_f16_e32 v64, v64, v73
	v_fmac_f16_e32 v62, 0xb836, v12
	v_add_f16_e32 v68, v68, v71
	v_fmamk_f16 v71, v11, 0x2de8, v70
	v_mul_f16_e32 v73, 0x2de8, v13
	v_add_f16_e32 v60, v60, v66
	v_mul_f16_e32 v66, 0xb964, v14
	v_add_f16_e32 v62, v62, v67
	v_add_f16_e32 v67, v71, v75
	v_fmamk_f16 v71, v12, 0xbbf7, v73
	v_fma_f16 v70, v11, 0x2de8, -v70
	v_fmac_f16_e32 v73, 0x3bf7, v12
	v_fmamk_f16 v75, v11, 0x39e9, v66
	v_mul_f16_e32 v82, 0x39e9, v13
	v_add_f16_e32 v71, v71, v72
	v_add_f16_e32 v69, v70, v69
	;; [unrolled: 1-line block ×4, first 2 shown]
	v_fmamk_f16 v73, v12, 0x3964, v82
	v_fma_f16 v66, v11, 0x39e9, -v66
	v_fmac_f16_e32 v82, 0xb964, v12
	v_mul_f16_e32 v75, 0xbbdd, v13
	v_add_f16_e32 v85, v85, v124
	v_mul_f16_e32 v74, 0xb1e1, v14
	v_add_f16_e32 v66, v66, v77
	v_add_f16_e32 v77, v82, v78
	v_fmamk_f16 v78, v12, 0x31e1, v75
	v_mul_f16_e32 v14, 0x3b29, v14
	v_mul_f16_e32 v13, 0x3722, v13
	v_add_f16_e32 v85, v97, v85
	v_fmac_f16_e32 v15, 0xb836, v6
	v_add_f16_e32 v78, v78, v79
	v_fmamk_f16 v79, v11, 0x3722, v14
	v_fmamk_f16 v80, v12, 0xbb29, v13
	v_fmac_f16_e32 v13, 0x3b29, v12
	v_add_f16_e32 v85, v90, v85
	v_fmac_f16_e32 v87, 0xb5c8, v36
	v_add_f16_e32 v73, v73, v76
	v_fmamk_f16 v76, v11, 0xbbdd, v74
	v_fma_f16 v74, v11, 0xbbdd, -v74
	v_fma_f16 v11, v11, 0x3722, -v14
	v_add_f16_e32 v14, v79, v38
	v_fma_f16 v32, v5, 0xbacd, -v32
	v_fma_f16 v38, v5, 0x3722, -v57
	v_add_f16_e32 v13, v13, v37
	v_add_f16_e32 v15, v15, v39
	v_fmac_f16_e32 v54, 0x3b29, v6
	v_mul_f16_e32 v37, 0x3a62, v8
	v_fmac_f16_e32 v55, 0xbbf7, v6
	v_mul_f16_e32 v39, 0xb8d2, v7
	v_add_f16_e32 v36, v87, v59
	v_add_f16_e32 v59, v84, v85
	v_fmac_f16_e32 v75, 0xb1e1, v12
	v_add_f16_e32 v11, v11, v35
	v_add_f16_e32 v32, v32, v41
	;; [unrolled: 1-line block ×3, first 2 shown]
	v_fma_f16 v38, v5, 0x2de8, -v56
	v_add_f16_e32 v41, v54, v63
	v_fmamk_f16 v54, v5, 0xb8d2, v37
	v_add_f16_e32 v56, v55, v65
	v_fmamk_f16 v55, v6, 0xba62, v39
	v_mul_f16_e32 v57, 0xb5c8, v8
	v_add_f16_e32 v12, v75, v36
	v_add_f16_e32 v36, v80, v59
	;; [unrolled: 1-line block ×4, first 2 shown]
	v_fmamk_f16 v54, v5, 0x3b76, v57
	v_mul_f16_e32 v55, 0x3b76, v7
	v_add_f16_e32 v86, v92, v86
	v_add_f16_e32 v38, v38, v61
	v_fma_f16 v37, v5, 0xb8d2, -v37
	v_add_f16_e32 v61, v54, v67
	v_fmamk_f16 v54, v6, 0x35c8, v55
	v_fmac_f16_e32 v55, 0xb5c8, v6
	v_mul_f16_e32 v63, 0xbbdd, v7
	v_add_f16_e32 v81, v81, v86
	v_fmac_f16_e32 v39, 0x3a62, v6
	v_add_f16_e32 v37, v37, v60
	v_mul_f16_e32 v60, 0xb1e1, v8
	v_add_f16_e32 v64, v54, v71
	v_add_f16_e32 v65, v55, v70
	v_fmamk_f16 v54, v6, 0x31e1, v63
	v_mul_f16_e32 v55, 0x3964, v8
	v_add_f16_e32 v74, v74, v81
	v_add_f16_e32 v39, v39, v62
	v_fmamk_f16 v62, v5, 0xbbdd, v60
	v_fma_f16 v60, v5, 0xbbdd, -v60
	v_mul_f16_e32 v67, 0x39e9, v7
	v_add_f16_e32 v68, v54, v73
	v_fmamk_f16 v54, v5, 0x39e9, v55
	v_fma_f16 v55, v5, 0x39e9, -v55
	v_mul_f16_e32 v7, 0xb461, v7
	v_add_f16_e32 v76, v76, v83
	v_fma_f16 v57, v5, 0x3b76, -v57
	v_mul_f16_e32 v8, 0xbbb2, v8
	v_add_f16_e32 v60, v60, v66
	v_fmamk_f16 v66, v6, 0xb964, v67
	v_add_f16_e32 v70, v55, v74
	v_fmac_f16_e32 v67, 0x3964, v6
	v_fmamk_f16 v55, v6, 0x3bb2, v7
	v_fmac_f16_e32 v9, 0xb1e1, v0
	v_add_f16_e32 v57, v57, v69
	v_add_f16_e32 v69, v54, v76
	v_fmamk_f16 v54, v5, 0xb461, v8
	v_fma_f16 v5, v5, 0xb461, -v8
	v_fmac_f16_e32 v63, 0xb1e1, v6
	v_fmac_f16_e32 v7, 0xbbb2, v6
	v_add_f16_e32 v6, v67, v12
	v_add_f16_e32 v12, v55, v36
	;; [unrolled: 1-line block ×3, first 2 shown]
	v_mul_f16_e32 v9, 0x3964, v3
	v_fma_f16 v10, v1, 0xbbdd, -v10
	v_add_f16_e32 v5, v5, v11
	v_fma_f16 v11, v1, 0x3b76, -v40
	v_fmac_f16_e32 v28, 0x35c8, v0
	v_fmac_f16_e32 v30, 0xb836, v0
	v_add_f16_e32 v7, v7, v13
	v_fmamk_f16 v13, v1, 0x39e9, v9
	v_mul_f16_e32 v15, 0x39e9, v2
	v_fma_f16 v9, v1, 0x39e9, -v9
	v_add_f16_e32 v8, v54, v14
	v_add_f16_e32 v54, v10, v32
	;; [unrolled: 1-line block ×3, first 2 shown]
	v_fma_f16 v11, v1, 0xbacd, -v34
	v_add_f16_e32 v14, v28, v41
	v_add_f16_e32 v28, v30, v56
	v_mul_f16_e32 v30, 0xba62, v3
	v_fmamk_f16 v32, v0, 0xb964, v15
	v_fmac_f16_e32 v15, 0x3964, v0
	v_mul_f16_e32 v34, 0xb8d2, v2
	v_add_f16_e32 v9, v9, v37
	v_mul_f16_e32 v37, 0x3b29, v3
	v_add_f16_e32 v11, v11, v38
	v_fmamk_f16 v35, v1, 0xb8d2, v30
	v_fma_f16 v30, v1, 0xb8d2, -v30
	v_mul_f16_e32 v38, 0x3722, v2
	v_mul_f16_e32 v41, 0xbbb2, v3
	;; [unrolled: 1-line block ×3, first 2 shown]
	v_add_f16_e32 v15, v15, v39
	v_fmamk_f16 v36, v0, 0x3a62, v34
	v_fmamk_f16 v39, v1, 0x3722, v37
	v_fma_f16 v37, v1, 0x3722, -v37
	v_mul_f16_e32 v3, 0x3bf7, v3
	v_mul_f16_e32 v2, 0x2de8, v2
	v_add_f16_e32 v62, v62, v72
	v_add_f16_e32 v66, v66, v78
	;; [unrolled: 1-line block ×4, first 2 shown]
	v_fmamk_f16 v40, v0, 0xbb29, v38
	v_fmamk_f16 v57, v1, 0xb461, v41
	;; [unrolled: 1-line block ×3, first 2 shown]
	v_add_f16_e32 v32, v32, v59
	v_add_f16_e32 v35, v35, v61
	v_add_f16_e32 v36, v36, v64
	v_add_f16_e32 v37, v37, v60
	v_fma_f16 v41, v1, 0xb461, -v41
	v_fmamk_f16 v59, v1, 0x2de8, v3
	v_fmamk_f16 v60, v0, 0xbbf7, v2
	v_fma_f16 v1, v1, 0x2de8, -v3
	v_fmac_f16_e32 v2, 0x3bf7, v0
	v_add_f16_e32 v63, v63, v77
	v_add_f16_e32 v39, v39, v62
	v_fmac_f16_e32 v38, 0x3b29, v0
	v_add_f16_e32 v40, v40, v68
	v_add_f16_e32 v57, v57, v69
	;; [unrolled: 1-line block ×3, first 2 shown]
	v_fmac_f16_e32 v56, 0xbbb2, v0
	v_fmac_f16_e32 v34, 0xba62, v0
	v_add_f16_e32 v8, v59, v8
	v_add_f16_e32 v12, v60, v12
	v_pack_b32_f16 v0, v13, v32
	v_pack_b32_f16 v3, v35, v36
	v_add_f16_e32 v1, v1, v5
	v_add_f16_e32 v2, v2, v7
	;; [unrolled: 1-line block ×4, first 2 shown]
	v_pack_b32_f16 v13, v39, v40
	v_pack_b32_f16 v32, v57, v58
	v_add_f16_e32 v5, v56, v6
	v_add_f16_e32 v34, v34, v65
	ds_write2_b32 v4, v0, v3 offset0:68 offset1:85
	ds_write2_b32 v4, v13, v32 offset0:102 offset1:119
	v_pack_b32_f16 v0, v8, v12
	v_pack_b32_f16 v1, v1, v2
	;; [unrolled: 1-line block ×9, first 2 shown]
	ds_write2_b32 v4, v0, v1 offset0:136 offset1:153
	ds_write2_b32 v4, v2, v3 offset0:170 offset1:187
	;; [unrolled: 1-line block ×4, first 2 shown]
	ds_write_b32 v4, v9 offset:1088
	s_waitcnt lgkmcnt(0)
	s_barrier
	buffer_gl0_inv
	ds_read2_b32 v[34:35], v26 offset0:33 offset1:67
	ds_read2_b32 v[36:37], v26 offset0:101 offset1:135
	;; [unrolled: 1-line block ×4, first 2 shown]
	ds_read_b32 v32, v42
	ds_read_b32 v58, v52
	;; [unrolled: 1-line block ×8, first 2 shown]
                                        ; implicit-def: $vgpr57
                                        ; implicit-def: $vgpr56
	s_and_saveexec_b32 s1, s0
	s_cbranch_execz .LBB0_14
; %bb.13:
	ds_read_b32 v54, v53
	ds_read_b32 v56, v45 offset:2244
	v_mov_b32_e32 v31, v20
	s_waitcnt lgkmcnt(1)
	v_lshrrev_b32_e32 v55, 16, v54
	s_waitcnt lgkmcnt(0)
	v_lshrrev_b32_e32 v57, 16, v56
.LBB0_14:
	s_or_b32 exec_lo, exec_lo, s1
	v_mov_b32_e32 v17, v33
	v_mov_b32_e32 v28, v33
	;; [unrolled: 1-line block ×4, first 2 shown]
	v_lshlrev_b64 v[0:1], 2, v[16:17]
	v_lshlrev_b64 v[14:15], 2, v[27:28]
	;; [unrolled: 1-line block ×3, first 2 shown]
	v_mov_b32_e32 v25, v33
	v_lshlrev_b64 v[12:13], 2, v[29:30]
	v_add_co_u32 v27, s1, s8, v0
	v_add_co_ci_u32_e64 v28, s1, s9, v1, s1
	v_lshlrev_b64 v[8:9], 2, v[24:25]
	v_mov_b32_e32 v24, v33
	v_add_co_u32 v29, s1, s8, v14
	v_add_co_ci_u32_e64 v30, s1, s9, v15, s1
	v_add_co_u32 v65, s1, s8, v12
	v_lshlrev_b64 v[6:7], 2, v[23:24]
	v_mov_b32_e32 v23, v33
	v_add_co_ci_u32_e64 v66, s1, s9, v13, s1
	v_add_co_u32 v25, s1, s8, v10
	v_add_co_ci_u32_e64 v26, s1, s9, v11, s1
	v_add_co_u32 v67, s1, s8, v8
	v_lshlrev_b64 v[4:5], 2, v[22:23]
	v_mov_b32_e32 v22, v33
	v_add_co_ci_u32_e64 v68, s1, s9, v9, s1
	v_add_co_u32 v23, s1, s8, v6
	v_add_co_ci_u32_e64 v24, s1, s9, v7, s1
	v_lshlrev_b64 v[2:3], 2, v[21:22]
	v_add_co_u32 v21, s1, s8, v4
	v_add_co_ci_u32_e64 v22, s1, s9, v5, s1
	v_add_co_u32 v69, s1, s8, v2
	v_add_co_ci_u32_e64 v70, s1, s9, v3, s1
	s_clause 0x7
	global_load_dword v17, v[21:22], off offset:1088
	global_load_dword v21, v[23:24], off offset:1088
	;; [unrolled: 1-line block ×8, first 2 shown]
	s_waitcnt vmcnt(0) lgkmcnt(0)
	s_barrier
	buffer_gl0_inv
	v_pk_mul_f16 v28, v17, v38 op_sel:[0,1]
	v_pk_mul_f16 v29, v21, v41 op_sel:[0,1]
	;; [unrolled: 1-line block ×8, first 2 shown]
	v_pk_fma_f16 v69, v17, v38, v28 op_sel:[0,0,1] op_sel_hi:[1,1,0]
	v_pk_fma_f16 v17, v17, v38, v28 op_sel:[0,0,1] op_sel_hi:[1,0,0] neg_lo:[1,0,0] neg_hi:[1,0,0]
	v_pk_fma_f16 v28, v21, v41, v29 op_sel:[0,0,1] op_sel_hi:[1,1,0]
	v_pk_fma_f16 v21, v21, v41, v29 op_sel:[0,0,1] op_sel_hi:[1,0,0] neg_lo:[1,0,0] neg_hi:[1,0,0]
	;; [unrolled: 2-line block ×8, first 2 shown]
	v_bfi_b32 v25, 0xffff, v36, v25
	v_bfi_b32 v24, 0xffff, v33, v24
	;; [unrolled: 1-line block ×8, first 2 shown]
	v_pk_add_f16 v26, v32, v26 neg_lo:[0,1] neg_hi:[0,1]
	v_pk_add_f16 v25, v58, v25 neg_lo:[0,1] neg_hi:[0,1]
	v_pk_add_f16 v24, v59, v24 neg_lo:[0,1] neg_hi:[0,1]
	v_pk_add_f16 v17, v64, v17 neg_lo:[0,1] neg_hi:[0,1]
	v_pk_add_f16 v21, v63, v21 neg_lo:[0,1] neg_hi:[0,1]
	v_pk_add_f16 v22, v62, v22 neg_lo:[0,1] neg_hi:[0,1]
	v_pk_add_f16 v23, v61, v23 neg_lo:[0,1] neg_hi:[0,1]
	v_pk_add_f16 v27, v60, v27 neg_lo:[0,1] neg_hi:[0,1]
	v_pk_fma_f16 v32, v32, 2.0, v26 op_sel_hi:[1,0,1] neg_lo:[0,0,1] neg_hi:[0,0,1]
	v_pk_fma_f16 v34, v58, 2.0, v25 op_sel_hi:[1,0,1] neg_lo:[0,0,1] neg_hi:[0,0,1]
	;; [unrolled: 1-line block ×7, first 2 shown]
	ds_write_b32 v45, v26 offset:1156
	v_pk_fma_f16 v26, v60, 2.0, v27 op_sel_hi:[1,0,1] neg_lo:[0,0,1] neg_hi:[0,0,1]
	ds_write_b32 v45, v32
	ds_write_b32 v52, v34
	ds_write_b32 v52, v25 offset:1156
	ds_write_b32 v51, v35
	ds_write_b32 v51, v24 offset:1156
	;; [unrolled: 2-line block ×7, first 2 shown]
	s_and_saveexec_b32 s4, s0
	s_cbranch_execz .LBB0_16
; %bb.15:
	v_mov_b32_e32 v32, 0
	v_lshlrev_b64 v[21:22], 2, v[31:32]
	v_add_co_u32 v21, s1, s8, v21
	v_add_co_ci_u32_e64 v22, s1, s9, v22, s1
	global_load_dword v17, v[21:22], off offset:1088
	s_waitcnt vmcnt(0)
	v_mul_f16_sdwa v21, v57, v17 dst_sel:DWORD dst_unused:UNUSED_PAD src0_sel:DWORD src1_sel:WORD_1
	v_mul_f16_sdwa v22, v56, v17 dst_sel:DWORD dst_unused:UNUSED_PAD src0_sel:DWORD src1_sel:WORD_1
	v_fmac_f16_e32 v21, v56, v17
	v_fma_f16 v17, v57, v17, -v22
	v_sub_f16_e32 v21, v54, v21
	v_sub_f16_e32 v17, v55, v17
	v_fma_f16 v22, v54, 2.0, -v21
	v_fma_f16 v23, v55, 2.0, -v17
	v_pack_b32_f16 v17, v21, v17
	v_pack_b32_f16 v22, v22, v23
	ds_write_b32 v45, v22 offset:1088
	ds_write_b32 v45, v17 offset:2244
.LBB0_16:
	s_or_b32 exec_lo, exec_lo, s4
	s_waitcnt lgkmcnt(0)
	s_barrier
	buffer_gl0_inv
	ds_read_b32 v24, v42
	v_sub_nc_u32_e32 v17, v44, v43
	s_add_u32 s4, s8, 0x8c4
	s_addc_u32 s5, s9, 0
	s_mov_b32 s6, exec_lo
                                        ; implicit-def: $vgpr23
                                        ; implicit-def: $vgpr21
                                        ; implicit-def: $vgpr22
	v_cmpx_ne_u32_e32 0, v16
	s_xor_b32 s6, exec_lo, s6
	s_cbranch_execz .LBB0_18
; %bb.17:
	v_add_co_u32 v21, s1, s4, v0
	v_add_co_ci_u32_e64 v22, s1, s5, v1, s1
                                        ; implicit-def: $vgpr44
	global_load_dword v23, v[21:22], off
	ds_read_b32 v21, v17 offset:2312
	s_waitcnt lgkmcnt(0)
	v_sub_f16_e32 v22, v24, v21
	v_add_f16_sdwa v25, v21, v24 dst_sel:DWORD dst_unused:UNUSED_PAD src0_sel:WORD_1 src1_sel:WORD_1
	v_sub_f16_sdwa v26, v24, v21 dst_sel:DWORD dst_unused:UNUSED_PAD src0_sel:WORD_1 src1_sel:WORD_1
	v_add_f16_e32 v21, v21, v24
	v_mul_f16_e32 v27, 0.5, v22
	v_mul_f16_e32 v24, 0.5, v25
	;; [unrolled: 1-line block ×3, first 2 shown]
	s_waitcnt vmcnt(0)
	v_lshrrev_b32_e32 v22, 16, v23
	v_mul_f16_e32 v26, v22, v27
	v_fma_f16 v28, v24, v22, v25
	v_fma_f16 v25, v24, v22, -v25
	v_fma_f16 v29, 0.5, v21, v26
	v_fma_f16 v21, v21, 0.5, -v26
	v_fma_f16 v22, -v23, v27, v28
	v_fmac_f16_e32 v29, v23, v24
	v_fma_f16 v21, -v23, v24, v21
	v_fma_f16 v23, -v23, v27, v25
                                        ; implicit-def: $vgpr24
	ds_write_b16 v42, v29
.LBB0_18:
	s_andn2_saveexec_b32 s1, s6
	s_cbranch_execz .LBB0_20
; %bb.19:
	ds_read_u16 v22, v44 offset:1158
	s_waitcnt lgkmcnt(1)
	v_add_f16_sdwa v25, v24, v24 dst_sel:DWORD dst_unused:UNUSED_PAD src0_sel:WORD_1 src1_sel:DWORD
	v_sub_f16_sdwa v21, v24, v24 dst_sel:DWORD dst_unused:UNUSED_PAD src0_sel:DWORD src1_sel:WORD_1
	v_mov_b32_e32 v23, 0
	s_waitcnt lgkmcnt(0)
	v_xor_b32_e32 v24, 0x8000, v22
	v_mov_b32_e32 v22, 0
	ds_write_b16 v42, v25
	ds_write_b16 v44, v24 offset:1158
.LBB0_20:
	s_or_b32 exec_lo, exec_lo, s1
	v_add_co_u32 v14, s1, s4, v14
	v_add_co_ci_u32_e64 v15, s1, s5, v15, s1
	v_add_co_u32 v12, s1, s4, v12
	v_add_co_ci_u32_e64 v13, s1, s5, v13, s1
	global_load_dword v14, v[14:15], off
	v_add_co_u32 v10, s1, s4, v10
	global_load_dword v12, v[12:13], off
	v_add_co_ci_u32_e64 v11, s1, s5, v11, s1
	v_add_co_u32 v8, s1, s4, v8
	v_add_co_ci_u32_e64 v9, s1, s5, v9, s1
	global_load_dword v10, v[10:11], off
	v_add_co_u32 v6, s1, s4, v6
	global_load_dword v8, v[8:9], off
	v_add_co_ci_u32_e64 v7, s1, s5, v7, s1
	v_add_co_u32 v4, s1, s4, v4
	v_add_co_ci_u32_e64 v5, s1, s5, v5, s1
	global_load_dword v6, v[6:7], off
	v_perm_b32 v7, v23, v21, 0x5040100
	ds_write_b16 v42, v22 offset:2
	ds_write_b32 v17, v7 offset:2312
	ds_read_b32 v7, v52
	ds_read_b32 v9, v17 offset:2176
	global_load_dword v4, v[4:5], off
	v_add_co_u32 v2, s1, s4, v2
	v_add_co_ci_u32_e64 v3, s1, s5, v3, s1
	global_load_dword v2, v[2:3], off
	s_waitcnt lgkmcnt(0)
	v_pk_add_f16 v5, v7, v9 neg_lo:[0,1] neg_hi:[0,1]
	v_pk_add_f16 v7, v7, v9
	v_bfi_b32 v9, 0xffff, v5, v7
	v_bfi_b32 v5, 0xffff, v7, v5
	v_pk_mul_f16 v7, v9, 0.5 op_sel_hi:[1,0]
	v_pk_mul_f16 v5, v5, 0.5 op_sel_hi:[1,0]
	s_waitcnt vmcnt(6)
	v_pk_fma_f16 v3, v14, v7, v5 op_sel:[1,0,0]
	v_pk_mul_f16 v9, v14, v7 op_sel_hi:[0,1]
	v_pk_fma_f16 v11, v14, v7, v5 op_sel:[1,0,0] neg_lo:[1,0,0] neg_hi:[1,0,0]
	v_pk_fma_f16 v5, v14, v7, v5 op_sel:[1,0,0] neg_lo:[0,0,1] neg_hi:[0,0,1]
	v_pk_add_f16 v7, v3, v9 op_sel:[0,1] op_sel_hi:[1,0]
	v_pk_add_f16 v3, v3, v9 op_sel:[0,1] op_sel_hi:[1,0] neg_lo:[0,1] neg_hi:[0,1]
	v_pk_add_f16 v11, v11, v9 op_sel:[0,1] op_sel_hi:[1,0] neg_lo:[0,1] neg_hi:[0,1]
	v_pk_add_f16 v5, v5, v9 op_sel:[0,1] op_sel_hi:[1,0] neg_lo:[0,1] neg_hi:[0,1]
	v_bfi_b32 v3, 0xffff, v7, v3
	v_bfi_b32 v5, 0xffff, v11, v5
	ds_write_b32 v52, v3
	ds_write_b32 v17, v5 offset:2176
	ds_read_b32 v3, v51
	ds_read_b32 v5, v17 offset:2040
	s_waitcnt lgkmcnt(0)
	v_pk_add_f16 v7, v3, v5 neg_lo:[0,1] neg_hi:[0,1]
	v_pk_add_f16 v3, v3, v5
	v_bfi_b32 v5, 0xffff, v7, v3
	v_bfi_b32 v3, 0xffff, v3, v7
	v_pk_mul_f16 v5, v5, 0.5 op_sel_hi:[1,0]
	v_pk_mul_f16 v3, v3, 0.5 op_sel_hi:[1,0]
	s_waitcnt vmcnt(5)
	v_pk_mul_f16 v9, v12, v5 op_sel_hi:[0,1]
	v_pk_fma_f16 v7, v12, v5, v3 op_sel:[1,0,0]
	v_pk_fma_f16 v11, v12, v5, v3 op_sel:[1,0,0] neg_lo:[1,0,0] neg_hi:[1,0,0]
	v_pk_fma_f16 v3, v12, v5, v3 op_sel:[1,0,0] neg_lo:[0,0,1] neg_hi:[0,0,1]
	v_pk_add_f16 v5, v7, v9 op_sel:[0,1] op_sel_hi:[1,0]
	v_pk_add_f16 v7, v7, v9 op_sel:[0,1] op_sel_hi:[1,0] neg_lo:[0,1] neg_hi:[0,1]
	v_pk_add_f16 v11, v11, v9 op_sel:[0,1] op_sel_hi:[1,0] neg_lo:[0,1] neg_hi:[0,1]
	v_pk_add_f16 v3, v3, v9 op_sel:[0,1] op_sel_hi:[1,0] neg_lo:[0,1] neg_hi:[0,1]
	v_bfi_b32 v5, 0xffff, v5, v7
	v_bfi_b32 v3, 0xffff, v11, v3
	ds_write_b32 v51, v5
	ds_write_b32 v17, v3 offset:2040
	ds_read_b32 v3, v50
	ds_read_b32 v5, v17 offset:1904
	s_waitcnt lgkmcnt(0)
	v_pk_add_f16 v7, v3, v5 neg_lo:[0,1] neg_hi:[0,1]
	v_pk_add_f16 v3, v3, v5
	v_bfi_b32 v5, 0xffff, v7, v3
	v_bfi_b32 v3, 0xffff, v3, v7
	v_pk_mul_f16 v5, v5, 0.5 op_sel_hi:[1,0]
	v_pk_mul_f16 v3, v3, 0.5 op_sel_hi:[1,0]
	s_waitcnt vmcnt(4)
	v_pk_mul_f16 v9, v10, v5 op_sel_hi:[0,1]
	v_pk_fma_f16 v7, v10, v5, v3 op_sel:[1,0,0]
	v_pk_fma_f16 v11, v10, v5, v3 op_sel:[1,0,0] neg_lo:[1,0,0] neg_hi:[1,0,0]
	v_pk_fma_f16 v3, v10, v5, v3 op_sel:[1,0,0] neg_lo:[0,0,1] neg_hi:[0,0,1]
	v_pk_add_f16 v5, v7, v9 op_sel:[0,1] op_sel_hi:[1,0]
	v_pk_add_f16 v7, v7, v9 op_sel:[0,1] op_sel_hi:[1,0] neg_lo:[0,1] neg_hi:[0,1]
	v_pk_add_f16 v10, v11, v9 op_sel:[0,1] op_sel_hi:[1,0] neg_lo:[0,1] neg_hi:[0,1]
	v_pk_add_f16 v3, v3, v9 op_sel:[0,1] op_sel_hi:[1,0] neg_lo:[0,1] neg_hi:[0,1]
	v_bfi_b32 v5, 0xffff, v5, v7
	v_bfi_b32 v3, 0xffff, v10, v3
	ds_write_b32 v50, v5
	ds_write_b32 v17, v3 offset:1904
	ds_read_b32 v3, v49
	ds_read_b32 v5, v17 offset:1768
	s_waitcnt lgkmcnt(0)
	v_pk_add_f16 v7, v3, v5 neg_lo:[0,1] neg_hi:[0,1]
	v_pk_add_f16 v3, v3, v5
	v_bfi_b32 v5, 0xffff, v7, v3
	v_bfi_b32 v3, 0xffff, v3, v7
	v_pk_mul_f16 v5, v5, 0.5 op_sel_hi:[1,0]
	v_pk_mul_f16 v3, v3, 0.5 op_sel_hi:[1,0]
	s_waitcnt vmcnt(3)
	v_pk_mul_f16 v9, v8, v5 op_sel_hi:[0,1]
	v_pk_fma_f16 v7, v8, v5, v3 op_sel:[1,0,0]
	v_pk_fma_f16 v10, v8, v5, v3 op_sel:[1,0,0] neg_lo:[1,0,0] neg_hi:[1,0,0]
	v_pk_fma_f16 v3, v8, v5, v3 op_sel:[1,0,0] neg_lo:[0,0,1] neg_hi:[0,0,1]
	v_pk_add_f16 v5, v7, v9 op_sel:[0,1] op_sel_hi:[1,0]
	v_pk_add_f16 v7, v7, v9 op_sel:[0,1] op_sel_hi:[1,0] neg_lo:[0,1] neg_hi:[0,1]
	v_pk_add_f16 v8, v10, v9 op_sel:[0,1] op_sel_hi:[1,0] neg_lo:[0,1] neg_hi:[0,1]
	v_pk_add_f16 v3, v3, v9 op_sel:[0,1] op_sel_hi:[1,0] neg_lo:[0,1] neg_hi:[0,1]
	v_bfi_b32 v5, 0xffff, v5, v7
	v_bfi_b32 v3, 0xffff, v8, v3
	ds_write_b32 v49, v5
	ds_write_b32 v17, v3 offset:1768
	ds_read_b32 v3, v48
	ds_read_b32 v5, v17 offset:1632
	s_waitcnt lgkmcnt(0)
	v_pk_add_f16 v7, v3, v5 neg_lo:[0,1] neg_hi:[0,1]
	v_pk_add_f16 v3, v3, v5
	v_bfi_b32 v5, 0xffff, v7, v3
	v_bfi_b32 v3, 0xffff, v3, v7
	v_pk_mul_f16 v5, v5, 0.5 op_sel_hi:[1,0]
	v_pk_mul_f16 v3, v3, 0.5 op_sel_hi:[1,0]
	s_waitcnt vmcnt(2)
	v_pk_mul_f16 v8, v6, v5 op_sel_hi:[0,1]
	v_pk_fma_f16 v7, v6, v5, v3 op_sel:[1,0,0]
	v_pk_fma_f16 v9, v6, v5, v3 op_sel:[1,0,0] neg_lo:[1,0,0] neg_hi:[1,0,0]
	v_pk_fma_f16 v3, v6, v5, v3 op_sel:[1,0,0] neg_lo:[0,0,1] neg_hi:[0,0,1]
	v_pk_add_f16 v5, v7, v8 op_sel:[0,1] op_sel_hi:[1,0]
	v_pk_add_f16 v6, v7, v8 op_sel:[0,1] op_sel_hi:[1,0] neg_lo:[0,1] neg_hi:[0,1]
	v_pk_add_f16 v7, v9, v8 op_sel:[0,1] op_sel_hi:[1,0] neg_lo:[0,1] neg_hi:[0,1]
	v_pk_add_f16 v3, v3, v8 op_sel:[0,1] op_sel_hi:[1,0] neg_lo:[0,1] neg_hi:[0,1]
	v_bfi_b32 v5, 0xffff, v5, v6
	v_bfi_b32 v3, 0xffff, v7, v3
	ds_write_b32 v48, v5
	ds_write_b32 v17, v3 offset:1632
	ds_read_b32 v3, v47
	ds_read_b32 v5, v17 offset:1496
	s_waitcnt lgkmcnt(0)
	v_pk_add_f16 v6, v3, v5 neg_lo:[0,1] neg_hi:[0,1]
	v_pk_add_f16 v3, v3, v5
	v_bfi_b32 v5, 0xffff, v6, v3
	v_bfi_b32 v3, 0xffff, v3, v6
	v_pk_mul_f16 v5, v5, 0.5 op_sel_hi:[1,0]
	v_pk_mul_f16 v3, v3, 0.5 op_sel_hi:[1,0]
	s_waitcnt vmcnt(1)
	v_pk_mul_f16 v7, v4, v5 op_sel_hi:[0,1]
	v_pk_fma_f16 v6, v4, v5, v3 op_sel:[1,0,0]
	v_pk_fma_f16 v8, v4, v5, v3 op_sel:[1,0,0] neg_lo:[1,0,0] neg_hi:[1,0,0]
	v_pk_fma_f16 v3, v4, v5, v3 op_sel:[1,0,0] neg_lo:[0,0,1] neg_hi:[0,0,1]
	v_pk_add_f16 v4, v6, v7 op_sel:[0,1] op_sel_hi:[1,0]
	v_pk_add_f16 v5, v6, v7 op_sel:[0,1] op_sel_hi:[1,0] neg_lo:[0,1] neg_hi:[0,1]
	v_pk_add_f16 v6, v8, v7 op_sel:[0,1] op_sel_hi:[1,0] neg_lo:[0,1] neg_hi:[0,1]
	v_pk_add_f16 v3, v3, v7 op_sel:[0,1] op_sel_hi:[1,0] neg_lo:[0,1] neg_hi:[0,1]
	v_bfi_b32 v4, 0xffff, v4, v5
	v_bfi_b32 v3, 0xffff, v6, v3
	ds_write_b32 v47, v4
	ds_write_b32 v17, v3 offset:1496
	ds_read_b32 v3, v46
	ds_read_b32 v4, v17 offset:1360
	s_waitcnt lgkmcnt(0)
	v_pk_add_f16 v5, v3, v4 neg_lo:[0,1] neg_hi:[0,1]
	v_pk_add_f16 v3, v3, v4
	v_bfi_b32 v4, 0xffff, v5, v3
	v_bfi_b32 v3, 0xffff, v3, v5
	v_pk_mul_f16 v4, v4, 0.5 op_sel_hi:[1,0]
	v_pk_mul_f16 v3, v3, 0.5 op_sel_hi:[1,0]
	s_waitcnt vmcnt(0)
	v_pk_mul_f16 v6, v2, v4 op_sel_hi:[0,1]
	v_pk_fma_f16 v5, v2, v4, v3 op_sel:[1,0,0]
	v_pk_fma_f16 v7, v2, v4, v3 op_sel:[1,0,0] neg_lo:[1,0,0] neg_hi:[1,0,0]
	v_pk_fma_f16 v2, v2, v4, v3 op_sel:[1,0,0] neg_lo:[0,0,1] neg_hi:[0,0,1]
	v_pk_add_f16 v3, v5, v6 op_sel:[0,1] op_sel_hi:[1,0]
	v_pk_add_f16 v4, v5, v6 op_sel:[0,1] op_sel_hi:[1,0] neg_lo:[0,1] neg_hi:[0,1]
	v_pk_add_f16 v5, v7, v6 op_sel:[0,1] op_sel_hi:[1,0] neg_lo:[0,1] neg_hi:[0,1]
	;; [unrolled: 1-line block ×3, first 2 shown]
	v_bfi_b32 v3, 0xffff, v3, v4
	v_bfi_b32 v2, 0xffff, v5, v2
	ds_write_b32 v46, v3
	ds_write_b32 v17, v2 offset:1360
	s_and_saveexec_b32 s1, s0
	s_cbranch_execz .LBB0_22
; %bb.21:
	v_mov_b32_e32 v21, 0
	v_lshlrev_b64 v[2:3], 2, v[20:21]
	v_add_co_u32 v2, s0, s4, v2
	v_add_co_ci_u32_e64 v3, s0, s5, v3, s0
	global_load_dword v2, v[2:3], off
	ds_read_b32 v3, v53
	ds_read_b32 v4, v17 offset:1224
	s_waitcnt lgkmcnt(0)
	v_pk_add_f16 v5, v3, v4 neg_lo:[0,1] neg_hi:[0,1]
	v_pk_add_f16 v3, v3, v4
	v_bfi_b32 v4, 0xffff, v5, v3
	v_bfi_b32 v3, 0xffff, v3, v5
	v_pk_mul_f16 v4, v4, 0.5 op_sel_hi:[1,0]
	v_pk_mul_f16 v3, v3, 0.5 op_sel_hi:[1,0]
	s_waitcnt vmcnt(0)
	v_pk_fma_f16 v5, v2, v4, v3 op_sel:[1,0,0]
	v_pk_mul_f16 v6, v2, v4 op_sel_hi:[0,1]
	v_pk_fma_f16 v7, v2, v4, v3 op_sel:[1,0,0] neg_lo:[1,0,0] neg_hi:[1,0,0]
	v_pk_fma_f16 v2, v2, v4, v3 op_sel:[1,0,0] neg_lo:[0,0,1] neg_hi:[0,0,1]
	v_pk_add_f16 v3, v5, v6 op_sel:[0,1] op_sel_hi:[1,0]
	v_pk_add_f16 v4, v5, v6 op_sel:[0,1] op_sel_hi:[1,0] neg_lo:[0,1] neg_hi:[0,1]
	v_pk_add_f16 v5, v7, v6 op_sel:[0,1] op_sel_hi:[1,0] neg_lo:[0,1] neg_hi:[0,1]
	;; [unrolled: 1-line block ×3, first 2 shown]
	v_bfi_b32 v3, 0xffff, v3, v4
	v_bfi_b32 v2, 0xffff, v5, v2
	ds_write_b32 v53, v3
	ds_write_b32 v17, v2 offset:1224
.LBB0_22:
	s_or_b32 exec_lo, exec_lo, s1
	s_waitcnt lgkmcnt(0)
	s_barrier
	buffer_gl0_inv
	s_and_saveexec_b32 s0, vcc_lo
	s_cbranch_execz .LBB0_25
; %bb.23:
	v_add_nc_u32_e32 v20, 0x400, v42
	ds_read2_b32 v[4:5], v42 offset1:34
	ds_read2_b32 v[6:7], v42 offset0:68 offset1:102
	ds_read2_b32 v[8:9], v42 offset0:136 offset1:170
	;; [unrolled: 1-line block ×4, first 2 shown]
	v_add_co_u32 v2, vcc_lo, s2, v18
	ds_read2_b32 v[14:15], v20 offset0:84 offset1:118
	ds_read2_b32 v[17:18], v20 offset0:152 offset1:186
	v_add_co_ci_u32_e32 v3, vcc_lo, s3, v19, vcc_lo
	ds_read_b32 v21, v42 offset:2176
	ds_read2_b32 v[19:20], v20 offset0:220 offset1:254
	v_add_co_u32 v0, vcc_lo, v2, v0
	v_add_co_ci_u32_e32 v1, vcc_lo, v3, v1, vcc_lo
	s_waitcnt lgkmcnt(8)
	global_store_dword v[0:1], v4, off
	global_store_dword v[0:1], v5, off offset:136
	s_waitcnt lgkmcnt(7)
	global_store_dword v[0:1], v6, off offset:272
	global_store_dword v[0:1], v7, off offset:408
	s_waitcnt lgkmcnt(6)
	global_store_dword v[0:1], v8, off offset:544
	;; [unrolled: 3-line block ×6, first 2 shown]
	v_add_co_u32 v4, vcc_lo, 0x800, v0
	v_add_co_ci_u32_e32 v5, vcc_lo, 0, v1, vcc_lo
	v_cmp_eq_u32_e32 vcc_lo, 33, v16
	global_store_dword v[0:1], v18, off offset:1768
	s_waitcnt lgkmcnt(0)
	global_store_dword v[0:1], v19, off offset:1904
	global_store_dword v[0:1], v20, off offset:2040
	;; [unrolled: 1-line block ×3, first 2 shown]
	s_and_b32 exec_lo, exec_lo, vcc_lo
	s_cbranch_execz .LBB0_25
; %bb.24:
	ds_read_b32 v4, v42 offset:2180
	v_add_co_u32 v0, vcc_lo, 0x800, v2
	v_add_co_ci_u32_e32 v1, vcc_lo, 0, v3, vcc_lo
	s_waitcnt lgkmcnt(0)
	global_store_dword v[0:1], v4, off offset:264
.LBB0_25:
	s_endpgm
	.section	.rodata,"a",@progbits
	.p2align	6, 0x0
	.amdhsa_kernel fft_rtc_back_len578_factors_17_17_2_wgs_238_tpt_34_halfLds_half_ip_CI_unitstride_sbrr_R2C_dirReg
		.amdhsa_group_segment_fixed_size 0
		.amdhsa_private_segment_fixed_size 0
		.amdhsa_kernarg_size 88
		.amdhsa_user_sgpr_count 6
		.amdhsa_user_sgpr_private_segment_buffer 1
		.amdhsa_user_sgpr_dispatch_ptr 0
		.amdhsa_user_sgpr_queue_ptr 0
		.amdhsa_user_sgpr_kernarg_segment_ptr 1
		.amdhsa_user_sgpr_dispatch_id 0
		.amdhsa_user_sgpr_flat_scratch_init 0
		.amdhsa_user_sgpr_private_segment_size 0
		.amdhsa_wavefront_size32 1
		.amdhsa_uses_dynamic_stack 0
		.amdhsa_system_sgpr_private_segment_wavefront_offset 0
		.amdhsa_system_sgpr_workgroup_id_x 1
		.amdhsa_system_sgpr_workgroup_id_y 0
		.amdhsa_system_sgpr_workgroup_id_z 0
		.amdhsa_system_sgpr_workgroup_info 0
		.amdhsa_system_vgpr_workitem_id 0
		.amdhsa_next_free_vgpr 126
		.amdhsa_next_free_sgpr 21
		.amdhsa_reserve_vcc 1
		.amdhsa_reserve_flat_scratch 0
		.amdhsa_float_round_mode_32 0
		.amdhsa_float_round_mode_16_64 0
		.amdhsa_float_denorm_mode_32 3
		.amdhsa_float_denorm_mode_16_64 3
		.amdhsa_dx10_clamp 1
		.amdhsa_ieee_mode 1
		.amdhsa_fp16_overflow 0
		.amdhsa_workgroup_processor_mode 1
		.amdhsa_memory_ordered 1
		.amdhsa_forward_progress 0
		.amdhsa_shared_vgpr_count 0
		.amdhsa_exception_fp_ieee_invalid_op 0
		.amdhsa_exception_fp_denorm_src 0
		.amdhsa_exception_fp_ieee_div_zero 0
		.amdhsa_exception_fp_ieee_overflow 0
		.amdhsa_exception_fp_ieee_underflow 0
		.amdhsa_exception_fp_ieee_inexact 0
		.amdhsa_exception_int_div_zero 0
	.end_amdhsa_kernel
	.text
.Lfunc_end0:
	.size	fft_rtc_back_len578_factors_17_17_2_wgs_238_tpt_34_halfLds_half_ip_CI_unitstride_sbrr_R2C_dirReg, .Lfunc_end0-fft_rtc_back_len578_factors_17_17_2_wgs_238_tpt_34_halfLds_half_ip_CI_unitstride_sbrr_R2C_dirReg
                                        ; -- End function
	.section	.AMDGPU.csdata,"",@progbits
; Kernel info:
; codeLenInByte = 16232
; NumSgprs: 23
; NumVgprs: 126
; ScratchSize: 0
; MemoryBound: 0
; FloatMode: 240
; IeeeMode: 1
; LDSByteSize: 0 bytes/workgroup (compile time only)
; SGPRBlocks: 2
; VGPRBlocks: 15
; NumSGPRsForWavesPerEU: 23
; NumVGPRsForWavesPerEU: 126
; Occupancy: 8
; WaveLimiterHint : 1
; COMPUTE_PGM_RSRC2:SCRATCH_EN: 0
; COMPUTE_PGM_RSRC2:USER_SGPR: 6
; COMPUTE_PGM_RSRC2:TRAP_HANDLER: 0
; COMPUTE_PGM_RSRC2:TGID_X_EN: 1
; COMPUTE_PGM_RSRC2:TGID_Y_EN: 0
; COMPUTE_PGM_RSRC2:TGID_Z_EN: 0
; COMPUTE_PGM_RSRC2:TIDIG_COMP_CNT: 0
	.text
	.p2alignl 6, 3214868480
	.fill 48, 4, 3214868480
	.type	__hip_cuid_af272a08caf71368,@object ; @__hip_cuid_af272a08caf71368
	.section	.bss,"aw",@nobits
	.globl	__hip_cuid_af272a08caf71368
__hip_cuid_af272a08caf71368:
	.byte	0                               ; 0x0
	.size	__hip_cuid_af272a08caf71368, 1

	.ident	"AMD clang version 19.0.0git (https://github.com/RadeonOpenCompute/llvm-project roc-6.4.0 25133 c7fe45cf4b819c5991fe208aaa96edf142730f1d)"
	.section	".note.GNU-stack","",@progbits
	.addrsig
	.addrsig_sym __hip_cuid_af272a08caf71368
	.amdgpu_metadata
---
amdhsa.kernels:
  - .args:
      - .actual_access:  read_only
        .address_space:  global
        .offset:         0
        .size:           8
        .value_kind:     global_buffer
      - .offset:         8
        .size:           8
        .value_kind:     by_value
      - .actual_access:  read_only
        .address_space:  global
        .offset:         16
        .size:           8
        .value_kind:     global_buffer
      - .actual_access:  read_only
        .address_space:  global
        .offset:         24
        .size:           8
        .value_kind:     global_buffer
      - .offset:         32
        .size:           8
        .value_kind:     by_value
      - .actual_access:  read_only
        .address_space:  global
        .offset:         40
        .size:           8
        .value_kind:     global_buffer
      - .actual_access:  read_only
        .address_space:  global
        .offset:         48
        .size:           8
        .value_kind:     global_buffer
      - .offset:         56
        .size:           4
        .value_kind:     by_value
      - .actual_access:  read_only
        .address_space:  global
        .offset:         64
        .size:           8
        .value_kind:     global_buffer
      - .actual_access:  read_only
        .address_space:  global
        .offset:         72
        .size:           8
        .value_kind:     global_buffer
      - .address_space:  global
        .offset:         80
        .size:           8
        .value_kind:     global_buffer
    .group_segment_fixed_size: 0
    .kernarg_segment_align: 8
    .kernarg_segment_size: 88
    .language:       OpenCL C
    .language_version:
      - 2
      - 0
    .max_flat_workgroup_size: 238
    .name:           fft_rtc_back_len578_factors_17_17_2_wgs_238_tpt_34_halfLds_half_ip_CI_unitstride_sbrr_R2C_dirReg
    .private_segment_fixed_size: 0
    .sgpr_count:     23
    .sgpr_spill_count: 0
    .symbol:         fft_rtc_back_len578_factors_17_17_2_wgs_238_tpt_34_halfLds_half_ip_CI_unitstride_sbrr_R2C_dirReg.kd
    .uniform_work_group_size: 1
    .uses_dynamic_stack: false
    .vgpr_count:     126
    .vgpr_spill_count: 0
    .wavefront_size: 32
    .workgroup_processor_mode: 1
amdhsa.target:   amdgcn-amd-amdhsa--gfx1030
amdhsa.version:
  - 1
  - 2
...

	.end_amdgpu_metadata
